;; amdgpu-corpus repo=ROCm/rocFFT kind=compiled arch=gfx1201 opt=O3
	.text
	.amdgcn_target "amdgcn-amd-amdhsa--gfx1201"
	.amdhsa_code_object_version 6
	.protected	fft_rtc_fwd_len715_factors_13_5_11_wgs_195_tpt_65_halfLds_half_op_CI_CI_sbrr_dirReg ; -- Begin function fft_rtc_fwd_len715_factors_13_5_11_wgs_195_tpt_65_halfLds_half_op_CI_CI_sbrr_dirReg
	.globl	fft_rtc_fwd_len715_factors_13_5_11_wgs_195_tpt_65_halfLds_half_op_CI_CI_sbrr_dirReg
	.p2align	8
	.type	fft_rtc_fwd_len715_factors_13_5_11_wgs_195_tpt_65_halfLds_half_op_CI_CI_sbrr_dirReg,@function
fft_rtc_fwd_len715_factors_13_5_11_wgs_195_tpt_65_halfLds_half_op_CI_CI_sbrr_dirReg: ; @fft_rtc_fwd_len715_factors_13_5_11_wgs_195_tpt_65_halfLds_half_op_CI_CI_sbrr_dirReg
; %bb.0:
	s_clause 0x1
	s_load_b128 s[12:15], s[0:1], 0x18
	s_load_b128 s[8:11], s[0:1], 0x0
	v_mul_u32_u24_e32 v1, 0x3f1, v0
	v_mov_b32_e32 v5, 0
	v_mov_b32_e32 v3, 0
	v_mov_b32_e32 v4, 0
	s_load_b128 s[4:7], s[0:1], 0x58
	s_wait_kmcnt 0x0
	s_load_b64 s[18:19], s[12:13], 0x0
	s_load_b64 s[16:17], s[14:15], 0x0
	v_lshrrev_b32_e32 v1, 16, v1
	v_cmp_lt_u64_e64 s2, s[10:11], 2
	v_dual_mov_b32 v9, v4 :: v_dual_mov_b32 v8, v3
	s_delay_alu instid0(VALU_DEP_3) | instskip(SKIP_1) | instid1(VALU_DEP_4)
	v_mad_co_u64_u32 v[1:2], null, ttmp9, 3, v[1:2]
	v_mov_b32_e32 v2, v5
	s_and_b32 vcc_lo, exec_lo, s2
	s_delay_alu instid0(VALU_DEP_1)
	v_dual_mov_b32 v11, v2 :: v_dual_mov_b32 v10, v1
	s_cbranch_vccnz .LBB0_8
; %bb.1:
	s_load_b64 s[2:3], s[0:1], 0x10
	v_mov_b32_e32 v3, 0
	v_dual_mov_b32 v4, 0 :: v_dual_mov_b32 v13, v2
	v_mov_b32_e32 v12, v1
	s_add_nc_u64 s[20:21], s[14:15], 8
	s_add_nc_u64 s[22:23], s[12:13], 8
	s_delay_alu instid0(VALU_DEP_2)
	v_dual_mov_b32 v9, v4 :: v_dual_mov_b32 v8, v3
	s_mov_b64 s[24:25], 1
	s_wait_kmcnt 0x0
	s_add_nc_u64 s[26:27], s[2:3], 8
	s_mov_b32 s3, 0
.LBB0_2:                                ; =>This Inner Loop Header: Depth=1
	s_load_b64 s[28:29], s[26:27], 0x0
                                        ; implicit-def: $vgpr10_vgpr11
	s_mov_b32 s2, exec_lo
	s_wait_kmcnt 0x0
	v_or_b32_e32 v6, s29, v13
	s_delay_alu instid0(VALU_DEP_1)
	v_cmpx_ne_u64_e32 0, v[5:6]
	s_wait_alu 0xfffe
	s_xor_b32 s30, exec_lo, s2
	s_cbranch_execz .LBB0_4
; %bb.3:                                ;   in Loop: Header=BB0_2 Depth=1
	s_cvt_f32_u32 s2, s28
	s_cvt_f32_u32 s31, s29
	s_sub_nc_u64 s[36:37], 0, s[28:29]
	s_wait_alu 0xfffe
	s_delay_alu instid0(SALU_CYCLE_1) | instskip(SKIP_1) | instid1(SALU_CYCLE_2)
	s_fmamk_f32 s2, s31, 0x4f800000, s2
	s_wait_alu 0xfffe
	v_s_rcp_f32 s2, s2
	s_delay_alu instid0(TRANS32_DEP_1) | instskip(SKIP_1) | instid1(SALU_CYCLE_2)
	s_mul_f32 s2, s2, 0x5f7ffffc
	s_wait_alu 0xfffe
	s_mul_f32 s31, s2, 0x2f800000
	s_wait_alu 0xfffe
	s_delay_alu instid0(SALU_CYCLE_2) | instskip(SKIP_1) | instid1(SALU_CYCLE_2)
	s_trunc_f32 s31, s31
	s_wait_alu 0xfffe
	s_fmamk_f32 s2, s31, 0xcf800000, s2
	s_cvt_u32_f32 s35, s31
	s_wait_alu 0xfffe
	s_delay_alu instid0(SALU_CYCLE_1) | instskip(SKIP_1) | instid1(SALU_CYCLE_2)
	s_cvt_u32_f32 s34, s2
	s_wait_alu 0xfffe
	s_mul_u64 s[38:39], s[36:37], s[34:35]
	s_wait_alu 0xfffe
	s_mul_hi_u32 s41, s34, s39
	s_mul_i32 s40, s34, s39
	s_mul_hi_u32 s2, s34, s38
	s_mul_i32 s33, s35, s38
	s_wait_alu 0xfffe
	s_add_nc_u64 s[40:41], s[2:3], s[40:41]
	s_mul_hi_u32 s31, s35, s38
	s_mul_hi_u32 s42, s35, s39
	s_add_co_u32 s2, s40, s33
	s_wait_alu 0xfffe
	s_add_co_ci_u32 s2, s41, s31
	s_mul_i32 s38, s35, s39
	s_add_co_ci_u32 s39, s42, 0
	s_wait_alu 0xfffe
	s_add_nc_u64 s[38:39], s[2:3], s[38:39]
	s_wait_alu 0xfffe
	v_add_co_u32 v2, s2, s34, s38
	s_delay_alu instid0(VALU_DEP_1) | instskip(SKIP_1) | instid1(VALU_DEP_1)
	s_cmp_lg_u32 s2, 0
	s_add_co_ci_u32 s35, s35, s39
	v_readfirstlane_b32 s34, v2
	s_wait_alu 0xfffe
	s_delay_alu instid0(VALU_DEP_1)
	s_mul_u64 s[36:37], s[36:37], s[34:35]
	s_wait_alu 0xfffe
	s_mul_hi_u32 s39, s34, s37
	s_mul_i32 s38, s34, s37
	s_mul_hi_u32 s2, s34, s36
	s_mul_i32 s33, s35, s36
	s_wait_alu 0xfffe
	s_add_nc_u64 s[38:39], s[2:3], s[38:39]
	s_mul_hi_u32 s31, s35, s36
	s_mul_hi_u32 s34, s35, s37
	s_wait_alu 0xfffe
	s_add_co_u32 s2, s38, s33
	s_add_co_ci_u32 s2, s39, s31
	s_mul_i32 s36, s35, s37
	s_add_co_ci_u32 s37, s34, 0
	s_wait_alu 0xfffe
	s_add_nc_u64 s[36:37], s[2:3], s[36:37]
	s_wait_alu 0xfffe
	v_add_co_u32 v2, s2, v2, s36
	s_delay_alu instid0(VALU_DEP_1) | instskip(SKIP_1) | instid1(VALU_DEP_1)
	s_cmp_lg_u32 s2, 0
	s_add_co_ci_u32 s2, s35, s37
	v_mul_hi_u32 v16, v12, v2
	s_wait_alu 0xfffe
	v_mad_co_u64_u32 v[6:7], null, v12, s2, 0
	v_mad_co_u64_u32 v[10:11], null, v13, v2, 0
	;; [unrolled: 1-line block ×3, first 2 shown]
	s_delay_alu instid0(VALU_DEP_3) | instskip(SKIP_1) | instid1(VALU_DEP_4)
	v_add_co_u32 v2, vcc_lo, v16, v6
	s_wait_alu 0xfffd
	v_add_co_ci_u32_e32 v6, vcc_lo, 0, v7, vcc_lo
	s_delay_alu instid0(VALU_DEP_2) | instskip(SKIP_1) | instid1(VALU_DEP_2)
	v_add_co_u32 v2, vcc_lo, v2, v10
	s_wait_alu 0xfffd
	v_add_co_ci_u32_e32 v2, vcc_lo, v6, v11, vcc_lo
	s_wait_alu 0xfffd
	v_add_co_ci_u32_e32 v6, vcc_lo, 0, v15, vcc_lo
	s_delay_alu instid0(VALU_DEP_2) | instskip(SKIP_1) | instid1(VALU_DEP_2)
	v_add_co_u32 v2, vcc_lo, v2, v14
	s_wait_alu 0xfffd
	v_add_co_ci_u32_e32 v10, vcc_lo, 0, v6, vcc_lo
	s_delay_alu instid0(VALU_DEP_2) | instskip(SKIP_1) | instid1(VALU_DEP_3)
	v_mul_lo_u32 v11, s29, v2
	v_mad_co_u64_u32 v[6:7], null, s28, v2, 0
	v_mul_lo_u32 v14, s28, v10
	s_delay_alu instid0(VALU_DEP_2) | instskip(NEXT) | instid1(VALU_DEP_2)
	v_sub_co_u32 v6, vcc_lo, v12, v6
	v_add3_u32 v7, v7, v14, v11
	s_delay_alu instid0(VALU_DEP_1) | instskip(SKIP_1) | instid1(VALU_DEP_1)
	v_sub_nc_u32_e32 v11, v13, v7
	s_wait_alu 0xfffd
	v_subrev_co_ci_u32_e64 v11, s2, s29, v11, vcc_lo
	v_add_co_u32 v14, s2, v2, 2
	s_wait_alu 0xf1ff
	v_add_co_ci_u32_e64 v15, s2, 0, v10, s2
	v_sub_co_u32 v16, s2, v6, s28
	v_sub_co_ci_u32_e32 v7, vcc_lo, v13, v7, vcc_lo
	s_wait_alu 0xf1ff
	v_subrev_co_ci_u32_e64 v11, s2, 0, v11, s2
	s_delay_alu instid0(VALU_DEP_3) | instskip(NEXT) | instid1(VALU_DEP_3)
	v_cmp_le_u32_e32 vcc_lo, s28, v16
	v_cmp_eq_u32_e64 s2, s29, v7
	s_wait_alu 0xfffd
	v_cndmask_b32_e64 v16, 0, -1, vcc_lo
	v_cmp_le_u32_e32 vcc_lo, s29, v11
	s_wait_alu 0xfffd
	v_cndmask_b32_e64 v17, 0, -1, vcc_lo
	v_cmp_le_u32_e32 vcc_lo, s28, v6
	;; [unrolled: 3-line block ×3, first 2 shown]
	s_wait_alu 0xfffd
	v_cndmask_b32_e64 v18, 0, -1, vcc_lo
	v_cmp_eq_u32_e32 vcc_lo, s29, v11
	s_wait_alu 0xf1ff
	s_delay_alu instid0(VALU_DEP_2)
	v_cndmask_b32_e64 v6, v18, v6, s2
	s_wait_alu 0xfffd
	v_cndmask_b32_e32 v11, v17, v16, vcc_lo
	v_add_co_u32 v16, vcc_lo, v2, 1
	s_wait_alu 0xfffd
	v_add_co_ci_u32_e32 v17, vcc_lo, 0, v10, vcc_lo
	s_delay_alu instid0(VALU_DEP_3) | instskip(SKIP_1) | instid1(VALU_DEP_2)
	v_cmp_ne_u32_e32 vcc_lo, 0, v11
	s_wait_alu 0xfffd
	v_dual_cndmask_b32 v14, v16, v14 :: v_dual_cndmask_b32 v7, v17, v15
	v_cmp_ne_u32_e32 vcc_lo, 0, v6
	s_wait_alu 0xfffd
	s_delay_alu instid0(VALU_DEP_2) | instskip(NEXT) | instid1(VALU_DEP_3)
	v_cndmask_b32_e32 v11, v10, v7, vcc_lo
	v_cndmask_b32_e32 v10, v2, v14, vcc_lo
.LBB0_4:                                ;   in Loop: Header=BB0_2 Depth=1
	s_wait_alu 0xfffe
	s_and_not1_saveexec_b32 s2, s30
	s_cbranch_execz .LBB0_6
; %bb.5:                                ;   in Loop: Header=BB0_2 Depth=1
	v_cvt_f32_u32_e32 v2, s28
	s_sub_co_i32 s30, 0, s28
	v_mov_b32_e32 v11, v5
	s_delay_alu instid0(VALU_DEP_2) | instskip(NEXT) | instid1(TRANS32_DEP_1)
	v_rcp_iflag_f32_e32 v2, v2
	v_mul_f32_e32 v2, 0x4f7ffffe, v2
	s_delay_alu instid0(VALU_DEP_1) | instskip(SKIP_1) | instid1(VALU_DEP_1)
	v_cvt_u32_f32_e32 v2, v2
	s_wait_alu 0xfffe
	v_mul_lo_u32 v6, s30, v2
	s_delay_alu instid0(VALU_DEP_1) | instskip(NEXT) | instid1(VALU_DEP_1)
	v_mul_hi_u32 v6, v2, v6
	v_add_nc_u32_e32 v2, v2, v6
	s_delay_alu instid0(VALU_DEP_1) | instskip(NEXT) | instid1(VALU_DEP_1)
	v_mul_hi_u32 v2, v12, v2
	v_mul_lo_u32 v6, v2, s28
	v_add_nc_u32_e32 v7, 1, v2
	s_delay_alu instid0(VALU_DEP_2) | instskip(NEXT) | instid1(VALU_DEP_1)
	v_sub_nc_u32_e32 v6, v12, v6
	v_subrev_nc_u32_e32 v10, s28, v6
	v_cmp_le_u32_e32 vcc_lo, s28, v6
	s_wait_alu 0xfffd
	s_delay_alu instid0(VALU_DEP_2) | instskip(SKIP_1) | instid1(VALU_DEP_2)
	v_cndmask_b32_e32 v6, v6, v10, vcc_lo
	v_cndmask_b32_e32 v2, v2, v7, vcc_lo
	v_cmp_le_u32_e32 vcc_lo, s28, v6
	s_delay_alu instid0(VALU_DEP_2) | instskip(SKIP_1) | instid1(VALU_DEP_1)
	v_add_nc_u32_e32 v7, 1, v2
	s_wait_alu 0xfffd
	v_cndmask_b32_e32 v10, v2, v7, vcc_lo
.LBB0_6:                                ;   in Loop: Header=BB0_2 Depth=1
	s_wait_alu 0xfffe
	s_or_b32 exec_lo, exec_lo, s2
	v_mul_lo_u32 v2, v11, s28
	s_delay_alu instid0(VALU_DEP_2)
	v_mul_lo_u32 v14, v10, s29
	s_load_b64 s[30:31], s[22:23], 0x0
	v_mad_co_u64_u32 v[6:7], null, v10, s28, 0
	s_load_b64 s[28:29], s[20:21], 0x0
	s_add_nc_u64 s[24:25], s[24:25], 1
	s_add_nc_u64 s[20:21], s[20:21], 8
	s_wait_alu 0xfffe
	v_cmp_ge_u64_e64 s2, s[24:25], s[10:11]
	s_add_nc_u64 s[22:23], s[22:23], 8
	s_add_nc_u64 s[26:27], s[26:27], 8
	v_add3_u32 v2, v7, v14, v2
	v_sub_co_u32 v6, vcc_lo, v12, v6
	s_wait_alu 0xfffd
	s_delay_alu instid0(VALU_DEP_2) | instskip(SKIP_2) | instid1(VALU_DEP_1)
	v_sub_co_ci_u32_e32 v2, vcc_lo, v13, v2, vcc_lo
	s_and_b32 vcc_lo, exec_lo, s2
	s_wait_kmcnt 0x0
	v_mul_lo_u32 v7, s30, v2
	v_mul_lo_u32 v12, s31, v6
	v_mad_co_u64_u32 v[3:4], null, s30, v6, v[3:4]
	v_mul_lo_u32 v2, s28, v2
	v_mul_lo_u32 v13, s29, v6
	v_mad_co_u64_u32 v[8:9], null, s28, v6, v[8:9]
	s_delay_alu instid0(VALU_DEP_4) | instskip(NEXT) | instid1(VALU_DEP_2)
	v_add3_u32 v4, v12, v4, v7
	v_add3_u32 v9, v13, v9, v2
	s_wait_alu 0xfffe
	s_cbranch_vccnz .LBB0_8
; %bb.7:                                ;   in Loop: Header=BB0_2 Depth=1
	v_dual_mov_b32 v13, v11 :: v_dual_mov_b32 v12, v10
	s_branch .LBB0_2
.LBB0_8:
	s_load_b64 s[0:1], s[0:1], 0x28
	s_lshl_b64 s[10:11], s[10:11], 3
	v_mul_hi_u32 v2, 0x3f03f04, v0
	s_wait_alu 0xfffe
	s_add_nc_u64 s[2:3], s[14:15], s[10:11]
	v_mov_b32_e32 v14, 0
	s_load_b64 s[2:3], s[2:3], 0x0
                                        ; implicit-def: $vgpr32
                                        ; implicit-def: $vgpr42
                                        ; implicit-def: $vgpr31
                                        ; implicit-def: $vgpr41
                                        ; implicit-def: $vgpr25
                                        ; implicit-def: $vgpr40
                                        ; implicit-def: $vgpr23
                                        ; implicit-def: $vgpr39
                                        ; implicit-def: $vgpr21
                                        ; implicit-def: $vgpr38
                                        ; implicit-def: $vgpr22
                                        ; implicit-def: $vgpr36
                                        ; implicit-def: $vgpr48
                                        ; implicit-def: $vgpr17
                                        ; implicit-def: $vgpr47
                                        ; implicit-def: $vgpr18
                                        ; implicit-def: $vgpr46
                                        ; implicit-def: $vgpr19
                                        ; implicit-def: $vgpr45
                                        ; implicit-def: $vgpr20
                                        ; implicit-def: $vgpr44
                                        ; implicit-def: $vgpr43
	v_mov_b32_e32 v13, 0
	s_delay_alu instid0(VALU_DEP_3) | instskip(SKIP_1) | instid1(VALU_DEP_2)
	v_mul_u32_u24_e32 v5, 0x41, v2
	v_mov_b32_e32 v2, 0
	v_sub_nc_u32_e32 v5, v0, v5
                                        ; implicit-def: $vgpr0
	s_wait_kmcnt 0x0
	v_cmp_gt_u64_e32 vcc_lo, s[0:1], v[10:11]
	s_and_saveexec_b32 s1, vcc_lo
	s_cbranch_execz .LBB0_12
; %bb.9:
	v_cmp_gt_u32_e64 s0, 55, v5
	v_dual_mov_b32 v13, 0 :: v_dual_mov_b32 v2, 0
                                        ; implicit-def: $vgpr43
                                        ; implicit-def: $vgpr44
                                        ; implicit-def: $vgpr20
                                        ; implicit-def: $vgpr45
                                        ; implicit-def: $vgpr19
                                        ; implicit-def: $vgpr46
                                        ; implicit-def: $vgpr18
                                        ; implicit-def: $vgpr47
                                        ; implicit-def: $vgpr17
                                        ; implicit-def: $vgpr48
                                        ; implicit-def: $vgpr0
                                        ; implicit-def: $vgpr36
                                        ; implicit-def: $vgpr22
                                        ; implicit-def: $vgpr38
                                        ; implicit-def: $vgpr21
                                        ; implicit-def: $vgpr39
                                        ; implicit-def: $vgpr23
                                        ; implicit-def: $vgpr40
                                        ; implicit-def: $vgpr25
                                        ; implicit-def: $vgpr41
                                        ; implicit-def: $vgpr31
                                        ; implicit-def: $vgpr42
                                        ; implicit-def: $vgpr32
	s_delay_alu instid0(VALU_DEP_2)
	s_and_saveexec_b32 s14, s0
	s_cbranch_execz .LBB0_11
; %bb.10:
	s_add_nc_u64 s[10:11], s[12:13], s[10:11]
	v_mad_co_u64_u32 v[6:7], null, s18, v5, 0
	s_load_b64 s[10:11], s[10:11], 0x0
	v_add_nc_u32_e32 v23, 55, v5
	v_lshlrev_b64_e32 v[2:3], 2, v[3:4]
	v_add_nc_u32_e32 v29, 0x181, v5
	s_delay_alu instid0(VALU_DEP_4) | instskip(NEXT) | instid1(VALU_DEP_4)
	v_dual_mov_b32 v0, v7 :: v_dual_add_nc_u32 v33, 0x226, v5
	v_mad_co_u64_u32 v[12:13], null, s18, v23, 0
	v_add_nc_u32_e32 v25, 0x6e, v5
	s_delay_alu instid0(VALU_DEP_3) | instskip(SKIP_1) | instid1(VALU_DEP_4)
	v_mad_co_u64_u32 v[20:21], null, s19, v5, v[0:1]
	v_add_nc_u32_e32 v26, 0xa5, v5
	v_mov_b32_e32 v0, v13
	s_delay_alu instid0(VALU_DEP_4)
	v_mad_co_u64_u32 v[14:15], null, s18, v25, 0
	v_add_nc_u32_e32 v27, 0xdc, v5
	s_wait_kmcnt 0x0
	v_mul_lo_u32 v7, s11, v10
	v_mul_lo_u32 v24, s10, v11
	v_mad_co_u64_u32 v[16:17], null, s10, v10, 0
	v_mov_b32_e32 v4, v15
	v_mad_co_u64_u32 v[21:22], null, s18, v27, 0
	s_delay_alu instid0(VALU_DEP_3) | instskip(SKIP_3) | instid1(VALU_DEP_4)
	v_add3_u32 v17, v17, v24, v7
	v_mad_co_u64_u32 v[23:24], null, s19, v23, v[0:1]
	v_mov_b32_e32 v7, v20
	v_mad_co_u64_u32 v[18:19], null, s18, v26, 0
	v_lshlrev_b64_e32 v[15:16], 2, v[16:17]
	s_delay_alu instid0(VALU_DEP_3) | instskip(SKIP_1) | instid1(VALU_DEP_3)
	v_lshlrev_b64_e32 v[6:7], 2, v[6:7]
	v_mov_b32_e32 v13, v23
	v_add_co_u32 v17, s0, s4, v15
	v_mov_b32_e32 v0, v19
	s_wait_alu 0xf1ff
	v_add_co_ci_u32_e64 v16, s0, s5, v16, s0
	s_delay_alu instid0(VALU_DEP_3) | instskip(SKIP_2) | instid1(VALU_DEP_3)
	v_add_co_u32 v31, s0, v17, v2
	v_mad_co_u64_u32 v[19:20], null, s19, v25, v[4:5]
	s_wait_alu 0xf1ff
	v_add_co_ci_u32_e64 v32, s0, v16, v3, s0
	v_lshlrev_b64_e32 v[2:3], 2, v[12:13]
	v_mad_co_u64_u32 v[12:13], null, s19, v26, v[0:1]
	s_delay_alu instid0(VALU_DEP_4) | instskip(SKIP_2) | instid1(VALU_DEP_3)
	v_dual_mov_b32 v4, v22 :: v_dual_mov_b32 v15, v19
	v_add_nc_u32_e32 v20, 0x113, v5
	v_add_co_u32 v6, s0, v31, v6
	v_mad_co_u64_u32 v[16:17], null, s19, v27, v[4:5]
	v_mov_b32_e32 v19, v12
	s_delay_alu instid0(VALU_DEP_4)
	v_mad_co_u64_u32 v[12:13], null, s18, v20, 0
	s_wait_alu 0xf1ff
	v_add_co_ci_u32_e64 v7, s0, v32, v7, s0
	v_add_co_u32 v23, s0, v31, v2
	v_dual_mov_b32 v22, v16 :: v_dual_add_nc_u32 v25, 0x14a, v5
	s_wait_alu 0xf1ff
	v_add_co_ci_u32_e64 v24, s0, v32, v3, s0
	v_lshlrev_b64_e32 v[2:3], 2, v[14:15]
	s_delay_alu instid0(VALU_DEP_3) | instskip(SKIP_1) | instid1(VALU_DEP_3)
	v_mad_co_u64_u32 v[14:15], null, s18, v25, 0
	v_mov_b32_e32 v0, v13
	v_add_co_u32 v16, s0, v31, v2
	s_wait_alu 0xf1ff
	s_delay_alu instid0(VALU_DEP_4) | instskip(SKIP_4) | instid1(VALU_DEP_4)
	v_add_co_ci_u32_e64 v17, s0, v32, v3, s0
	v_lshlrev_b64_e32 v[2:3], 2, v[18:19]
	v_lshlrev_b64_e32 v[18:19], 2, v[21:22]
	v_mad_co_u64_u32 v[20:21], null, s19, v20, v[0:1]
	v_mov_b32_e32 v4, v15
	v_add_co_u32 v27, s0, v31, v2
	v_add_nc_u32_e32 v2, 0x1b8, v5
	s_wait_alu 0xf1ff
	v_add_co_ci_u32_e64 v28, s0, v32, v3, s0
	v_mov_b32_e32 v13, v20
	v_mad_co_u64_u32 v[21:22], null, s19, v25, v[4:5]
	v_mad_co_u64_u32 v[25:26], null, s18, v29, 0
	v_add_co_u32 v3, s0, v31, v18
	s_wait_alu 0xf1ff
	v_add_co_ci_u32_e64 v4, s0, v32, v19, s0
	s_delay_alu instid0(VALU_DEP_4) | instskip(SKIP_2) | instid1(VALU_DEP_3)
	v_mov_b32_e32 v15, v21
	v_lshlrev_b64_e32 v[12:13], 2, v[12:13]
	v_mov_b32_e32 v0, v26
	v_lshlrev_b64_e32 v[14:15], 2, v[14:15]
	s_delay_alu instid0(VALU_DEP_2) | instskip(SKIP_3) | instid1(VALU_DEP_4)
	v_mad_co_u64_u32 v[18:19], null, s19, v29, v[0:1]
	v_mad_co_u64_u32 v[19:20], null, s18, v2, 0
	v_add_co_u32 v12, s0, v31, v12
	v_mad_co_u64_u32 v[29:30], null, s18, v33, 0
	v_mov_b32_e32 v26, v18
	v_add_nc_u32_e32 v18, 0x1ef, v5
	v_mov_b32_e32 v0, v20
	s_wait_alu 0xf1ff
	v_add_co_ci_u32_e64 v13, s0, v32, v13, s0
	v_add_co_u32 v14, s0, v31, v14
	s_delay_alu instid0(VALU_DEP_3)
	v_mad_co_u64_u32 v[20:21], null, s19, v2, v[0:1]
	v_mad_co_u64_u32 v[21:22], null, s18, v18, 0
	s_wait_alu 0xf1ff
	v_add_co_ci_u32_e64 v15, s0, v32, v15, s0
	s_clause 0x6
	global_load_b32 v2, v[6:7], off
	global_load_b32 v42, v[23:24], off
	;; [unrolled: 1-line block ×7, first 2 shown]
	v_add_nc_u32_e32 v23, 0x25d, v5
	v_add_nc_u32_e32 v24, 0x294, v5
	v_lshlrev_b64_e32 v[3:4], 2, v[25:26]
	v_mov_b32_e32 v0, v22
	s_delay_alu instid0(VALU_DEP_4) | instskip(NEXT) | instid1(VALU_DEP_2)
	v_mad_co_u64_u32 v[12:13], null, s18, v23, 0
	v_mad_co_u64_u32 v[6:7], null, s19, v18, v[0:1]
	v_mov_b32_e32 v0, v30
	v_lshlrev_b64_e32 v[17:18], 2, v[19:20]
	v_add_co_u32 v3, s0, v31, v3
	s_wait_alu 0xf1ff
	v_add_co_ci_u32_e64 v4, s0, v32, v4, s0
	v_mad_co_u64_u32 v[14:15], null, s19, v33, v[0:1]
	v_mad_co_u64_u32 v[15:16], null, s18, v24, 0
	v_mov_b32_e32 v0, v13
	v_mov_b32_e32 v22, v6
	v_add_co_u32 v17, s0, v31, v17
	v_mov_b32_e32 v30, v14
	s_delay_alu instid0(VALU_DEP_4) | instskip(SKIP_4) | instid1(VALU_DEP_3)
	v_mad_co_u64_u32 v[6:7], null, s19, v23, v[0:1]
	v_mov_b32_e32 v0, v16
	v_lshlrev_b64_e32 v[19:20], 2, v[21:22]
	s_wait_alu 0xf1ff
	v_add_co_ci_u32_e64 v18, s0, v32, v18, s0
	v_mad_co_u64_u32 v[21:22], null, s19, v24, v[0:1]
	v_mov_b32_e32 v13, v6
	v_lshlrev_b64_e32 v[22:23], 2, v[29:30]
	v_add_co_u32 v6, s0, v31, v19
	s_wait_alu 0xf1ff
	v_add_co_ci_u32_e64 v7, s0, v32, v20, s0
	v_mov_b32_e32 v16, v21
	v_lshlrev_b64_e32 v[12:13], 2, v[12:13]
	v_add_co_u32 v19, s0, v31, v22
	s_wait_alu 0xf1ff
	v_add_co_ci_u32_e64 v20, s0, v32, v23, s0
	v_lshlrev_b64_e32 v[14:15], 2, v[15:16]
	s_delay_alu instid0(VALU_DEP_4) | instskip(SKIP_2) | instid1(VALU_DEP_3)
	v_add_co_u32 v12, s0, v31, v12
	s_wait_alu 0xf1ff
	v_add_co_ci_u32_e64 v13, s0, v32, v13, s0
	v_add_co_u32 v14, s0, v31, v14
	s_wait_alu 0xf1ff
	v_add_co_ci_u32_e64 v15, s0, v32, v15, s0
	s_clause 0x5
	global_load_b32 v44, v[17:18], off
	global_load_b32 v45, v[6:7], off
	;; [unrolled: 1-line block ×6, first 2 shown]
	s_wait_loadcnt 0xb
	v_lshrrev_b32_e32 v32, 16, v42
	s_wait_loadcnt 0xa
	v_lshrrev_b32_e32 v31, 16, v41
	;; [unrolled: 2-line block ×11, first 2 shown]
	s_wait_loadcnt 0x0
	v_perm_b32 v13, v2, v43, 0x7060302
.LBB0_11:
	s_or_b32 exec_lo, exec_lo, s14
	v_mov_b32_e32 v14, v5
.LBB0_12:
	s_wait_alu 0xfffe
	s_or_b32 exec_lo, exec_lo, s1
	v_add_f16_e32 v51, v42, v48
	v_sub_f16_e32 v27, v32, v0
	v_add_f16_e32 v49, v41, v47
	v_sub_f16_e32 v28, v31, v17
	v_add_f16_e32 v50, v40, v46
	v_mul_f16_e32 v24, 0x2fb7, v51
	v_pk_mul_f16 v30, 0x3b15388b, v51 op_sel_hi:[1,0]
	v_mul_f16_e32 v26, 0xbbc4, v49
	v_sub_f16_e32 v29, v25, v18
	v_add_f16_e32 v37, v39, v45
	v_fmamk_f16 v4, v27, 0xbbf1, v24
	v_mul_f16_e32 v16, 0xb5ac, v50
	v_fmamk_f16 v6, v28, 0xb3a8, v26
	v_pk_mul_f16 v33, 0x388bb5ac, v49 op_sel_hi:[1,0]
	v_pk_fma_f16 v15, 0xb770ba95, v27, v30 op_sel_hi:[1,0,1]
	v_add_f16_e32 v4, v2, v4
	v_mul_hi_u32 v3, 0xaaaaaaab, v1
	v_fmamk_f16 v12, v29, 0x3b7b, v16
	v_sub_f16_e32 v54, v23, v19
	v_mul_f16_e32 v7, 0x3b15, v37
	v_add_f16_e32 v4, v4, v6
	v_pk_add_f16 v6, v2, v15 op_sel_hi:[0,1]
	v_pk_fma_f16 v15, 0xba95bb7b, v28, v33 op_sel_hi:[1,0,1]
	v_pk_mul_f16 v52, 0x2fb7bbc4, v50 op_sel_hi:[1,0]
	v_lshrrev_b32_e32 v3, 1, v3
	v_add_f16_e32 v4, v4, v12
	v_fmamk_f16 v12, v54, 0x3770, v7
	v_add_f16_e32 v55, v38, v44
	v_pk_add_f16 v6, v6, v15
	v_pk_fma_f16 v15, 0xbbf1b3a8, v29, v52 op_sel_hi:[1,0,1]
	v_pk_mul_f16 v53, 0xb5acb9fd, v37 op_sel_hi:[1,0]
	v_lshl_add_u32 v3, v3, 1, v3
	v_add_f16_e32 v4, v4, v12
	v_sub_f16_e32 v56, v21, v20
	v_mul_f16_e32 v12, 0x388b, v55
	v_pk_add_f16 v6, v6, v15
	v_pk_fma_f16 v15, 0xbb7b394e, v54, v53 op_sel_hi:[1,0,1]
	v_pk_mul_f16 v34, 0xb9fd2fb7, v55 op_sel_hi:[1,0]
	v_add_f16_e32 v58, v36, v43
	v_fmamk_f16 v59, v56, 0xba95, v12
	v_sub_f16_e32 v57, v22, v13
	v_pk_add_f16 v6, v6, v15
	v_pk_fma_f16 v60, 0xb94e3bf1, v56, v34 op_sel_hi:[1,0,1]
	v_pk_mul_f16 v35, 0xbbc43b15, v58 op_sel_hi:[1,0]
	v_mul_f16_e32 v15, 0xb9fd, v58
	v_sub_nc_u32_e32 v1, v1, v3
	v_add_f16_e32 v4, v4, v59
	v_pk_add_f16 v3, v6, v60
	v_pk_fma_f16 v6, 0xb3a83770, v57, v35 op_sel_hi:[1,0,1]
	v_fmamk_f16 v59, v57, 0xb94e, v15
	v_mul_u32_u24_e32 v1, 0x2cb, v1
	v_cmp_gt_u32_e64 s1, 55, v5
	s_delay_alu instid0(VALU_DEP_4) | instskip(NEXT) | instid1(VALU_DEP_4)
	v_pk_add_f16 v3, v3, v6
	v_add_f16_e32 v6, v4, v59
	s_delay_alu instid0(VALU_DEP_4) | instskip(NEXT) | instid1(VALU_DEP_4)
	v_lshlrev_b32_e32 v4, 1, v1
	s_and_saveexec_b32 s0, s1
	s_cbranch_execz .LBB0_14
; %bb.13:
	v_add_f16_e32 v79, v2, v42
	v_pack_b32_f16 v63, v51, v51
	v_mul_f16_e32 v51, 0xb5ac, v51
	v_pack_b32_f16 v67, v49, v49
	v_mul_f16_e32 v49, 0xb9fd, v49
	v_add_f16_e32 v79, v79, v41
	v_pk_mul_f16 v65, 0xb770ba95, v27 op_sel_hi:[1,0]
	v_fmamk_f16 v84, v27, 0xbb7b, v51
	v_perm_b32 v66, v2, v2, 0x5040100
	v_pack_b32_f16 v70, v50, v50
	v_add_f16_e32 v79, v79, v40
	v_mul_f16_e32 v50, 0x3b15, v50
	v_add_f16_e32 v2, v2, v84
	v_fmamk_f16 v84, v28, 0x394e, v49
	v_pk_mul_f16 v69, 0xba95bb7b, v28 op_sel_hi:[1,0]
	v_add_f16_e32 v79, v79, v39
	v_pack_b32_f16 v73, v37, v37
	v_mul_f16_e32 v37, 0x2fb7, v37
	v_add_f16_e32 v2, v2, v84
	v_fmamk_f16 v84, v29, 0x3770, v50
	v_add_f16_e32 v79, v79, v38
	v_pk_add_f16 v30, v30, v65 neg_lo:[0,1] neg_hi:[0,1]
	v_mul_f16_e32 v1, 0xbbf1, v27
	v_pack_b32_f16 v64, v27, v27
	v_pk_mul_f16 v72, 0xbbf1b3a8, v29 op_sel_hi:[1,0]
	v_add_f16_e32 v79, v79, v36
	v_pack_b32_f16 v76, v55, v55
	v_mul_f16_e32 v27, 0xbb7b, v27
	v_add_f16_e32 v2, v2, v84
	v_fmamk_f16 v84, v54, 0xbbf1, v37
	v_add_f16_e32 v79, v79, v43
	v_mul_f16_e32 v55, 0xbbc4, v55
	v_pk_add_f16 v30, v66, v30
	v_pk_add_f16 v33, v33, v69 neg_lo:[0,1] neg_hi:[0,1]
	v_mul_f16_e32 v59, 0xb3a8, v28
	v_add_f16_e32 v65, v44, v79
	v_mul_f16_e32 v62, 0xba95, v56
	v_pack_b32_f16 v68, v28, v28
	v_pk_mul_f16 v75, 0xbb7b394e, v54 op_sel_hi:[1,0]
	v_pack_b32_f16 v77, v56, v56
	v_pk_mul_f16 v78, 0xb94e3bf1, v56 op_sel_hi:[1,0]
	v_pack_b32_f16 v80, v58, v58
	v_mul_f16_e32 v28, 0x394e, v28
	v_add_f16_e32 v2, v2, v84
	v_mul_f16_e32 v69, 0x33a8, v56
	v_fmamk_f16 v56, v56, 0x33a8, v55
	v_mul_f16_e32 v58, 0x388b, v58
	v_add_f16_e32 v65, v45, v65
	v_pk_add_f16 v30, v30, v33
	v_pk_add_f16 v33, v52, v72 neg_lo:[0,1] neg_hi:[0,1]
	v_perm_b32 v24, v51, v24, 0x5040100
	v_perm_b32 v1, v27, v1, 0x5040100
	v_pack_b32_f16 v81, v57, v57
	v_pk_mul_f16 v82, 0xb3a83770, v57 op_sel_hi:[1,0]
	v_mul_f16_e32 v83, 0xb94e, v57
	v_add_f16_e32 v2, v2, v56
	v_mul_f16_e32 v52, 0x3a95, v57
	v_fmamk_f16 v56, v57, 0x3a95, v58
	v_add_f16_e32 v57, v46, v65
	v_pk_add_f16 v30, v30, v33
	v_pk_add_f16 v33, v53, v75 neg_lo:[0,1] neg_hi:[0,1]
	v_pk_add_f16 v1, v24, v1 neg_lo:[0,1] neg_hi:[0,1]
	v_perm_b32 v24, v49, v26, 0x5040100
	v_perm_b32 v26, v28, v59, 0x5040100
	v_mul_f16_e32 v60, 0x3b7b, v29
	v_pack_b32_f16 v71, v29, v29
	v_pk_mul_f16 v63, 0xbbc4b9fd, v63
	v_mul_f16_e32 v29, 0x3770, v29
	v_add_f16_e32 v27, v47, v57
	v_pk_add_f16 v30, v30, v33
	v_pk_add_f16 v33, v34, v78 neg_lo:[0,1] neg_hi:[0,1]
	v_pk_add_f16 v1, v66, v1
	v_pk_add_f16 v24, v24, v26 neg_lo:[0,1] neg_hi:[0,1]
	v_mul_f16_e32 v61, 0x3770, v54
	v_pack_b32_f16 v74, v54, v54
	v_pk_mul_f16 v67, 0x3b152fb7, v67
	v_mul_f16_e32 v54, 0xbbf1, v54
	v_add_f16_e32 v34, v48, v27
	v_pk_add_f16 v27, v30, v33
	v_pk_add_f16 v28, v35, v82 neg_lo:[0,1] neg_hi:[0,1]
	v_perm_b32 v16, v50, v16, 0x5040100
	v_perm_b32 v26, v29, v60, 0x5040100
	v_pk_add_f16 v1, v1, v24
	v_pk_fma_f16 v24, 0xb3a8b94e, v64, v63
	v_pk_mul_f16 v70, 0xb9fd388b, v70
	v_pk_add_f16 v27, v27, v28
	v_pk_add_f16 v16, v16, v26 neg_lo:[0,1] neg_hi:[0,1]
	v_perm_b32 v7, v37, v7, 0x5040100
	v_perm_b32 v26, v54, v61, 0x5040100
	v_pk_fma_f16 v28, 0xb3a8b94e, v64, v63 neg_lo:[0,1,0] neg_hi:[0,1,0]
	v_pk_add_f16 v24, v66, v24
	v_pk_fma_f16 v30, 0x37703bf1, v68, v67
	v_pk_mul_f16 v73, 0x388bbbc4, v73
	v_pk_add_f16 v1, v1, v16
	v_pk_add_f16 v7, v7, v26 neg_lo:[0,1] neg_hi:[0,1]
	v_pk_add_f16 v16, v66, v28
	v_pk_fma_f16 v26, 0x37703bf1, v68, v67 neg_lo:[0,1,0] neg_hi:[0,1,0]
	v_pk_add_f16 v24, v24, v30
	v_pk_fma_f16 v28, 0xb94eba95, v71, v70
	v_pk_mul_f16 v76, 0xb5ac3b15, v76
	v_perm_b32 v12, v55, v12, 0x5040100
	v_perm_b32 v30, v69, v62, 0x5040100
	v_pk_add_f16 v16, v16, v26
	v_pk_fma_f16 v26, 0xb94eba95, v71, v70 neg_lo:[0,1,0] neg_hi:[0,1,0]
	v_pk_add_f16 v24, v24, v28
	v_pk_fma_f16 v28, 0x3a9533a8, v74, v73
	v_pk_mul_f16 v80, 0x2fb7b5ac, v80
	v_pk_add_f16 v1, v1, v7
	v_pk_add_f16 v7, v12, v30 neg_lo:[0,1] neg_hi:[0,1]
	v_pk_add_f16 v12, v16, v26
	v_pk_fma_f16 v16, 0x3a9533a8, v74, v73 neg_lo:[0,1,0] neg_hi:[0,1,0]
	v_pk_add_f16 v24, v24, v28
	v_pk_fma_f16 v26, 0xbb7b3770, v77, v76
	v_perm_b32 v15, v58, v15, 0x5040100
	v_perm_b32 v28, v52, v83, 0x5040100
	v_pk_add_f16 v12, v12, v16
	v_pk_fma_f16 v16, 0xbb7b3770, v77, v76 neg_lo:[0,1,0] neg_hi:[0,1,0]
	v_pk_add_f16 v24, v24, v26
	v_pk_fma_f16 v26, 0x3bf1bb7b, v81, v80
	v_mul_u32_u24_e32 v29, 26, v5
	v_pk_add_f16 v1, v1, v7
	v_pk_add_f16 v7, v15, v28 neg_lo:[0,1] neg_hi:[0,1]
	v_pk_add_f16 v12, v12, v16
	v_pk_fma_f16 v15, 0x3bf1bb7b, v81, v80 neg_lo:[0,1,0] neg_hi:[0,1,0]
	v_pk_add_f16 v16, v24, v26
	v_add_f16_e32 v2, v2, v56
	v_add3_u32 v24, 0, v29, v4
	v_alignbit_b32 v26, v27, v27, 16
	v_pk_add_f16 v27, v1, v7
	v_pk_add_f16 v28, v12, v15
	v_alignbit_b32 v29, v16, v16, 16
	v_perm_b32 v2, v6, v2, 0x5040100
	ds_store_b16 v24, v34
	ds_store_b128 v24, v[26:29] offset:2
	ds_store_b64 v24, v[2:3] offset:18
.LBB0_14:
	s_wait_alu 0xfffe
	s_or_b32 exec_lo, exec_lo, s0
	v_lshlrev_b32_e32 v1, 1, v5
	global_wb scope:SCOPE_SE
	s_wait_dscnt 0x0
	s_barrier_signal -1
	s_barrier_wait -1
	global_inv scope:SCOPE_SE
	v_add_nc_u32_e32 v49, 0, v1
	v_add3_u32 v16, 0, v4, v1
	v_cmp_gt_u32_e64 s0, 13, v5
                                        ; implicit-def: $vgpr29
                                        ; implicit-def: $vgpr30
	s_delay_alu instid0(VALU_DEP_3)
	v_add_nc_u32_e32 v15, v49, v4
	ds_load_u16 v7, v16
	ds_load_u16 v24, v15 offset:988
	ds_load_u16 v33, v15 offset:858
	ds_load_u16 v26, v15 offset:702
	ds_load_u16 v34, v15 offset:572
	ds_load_u16 v28, v15 offset:416
	ds_load_u16 v37, v15 offset:286
	ds_load_u16 v12, v15 offset:130
	ds_load_u16 v35, v15 offset:1144
	ds_load_u16 v27, v15 offset:1274
	s_and_saveexec_b32 s4, s0
	s_cbranch_execz .LBB0_16
; %bb.15:
	ds_load_u16 v3, v15 offset:546
	ds_load_u16 v6, v15 offset:260
	;; [unrolled: 1-line block ×3, first 2 shown]
	s_wait_dscnt 0x2
	ds_load_u16_d16_hi v3, v15 offset:832
	ds_load_u16 v29, v15 offset:1404
.LBB0_16:
	s_wait_alu 0xfffe
	s_or_b32 exec_lo, exec_lo, s4
	v_sub_f16_e32 v75, v42, v48
	v_add_f16_e32 v61, v32, v0
	v_sub_f16_e32 v76, v41, v47
	v_add_f16_e32 v59, v31, v17
	v_sub_f16_e32 v77, v40, v46
	v_pk_mul_f16 v73, 0xb770ba95, v75 op_sel_hi:[1,0]
	v_add_f16_e32 v62, v25, v18
	v_pk_mul_f16 v71, 0xba95bb7b, v76 op_sel_hi:[1,0]
	v_sub_f16_e32 v78, v39, v45
	v_pk_mul_f16 v67, 0xbbf1b3a8, v77 op_sel_hi:[1,0]
	v_pk_fma_f16 v1, 0x3b15388b, v61, v73 op_sel_hi:[1,0,1] neg_lo:[0,0,1] neg_hi:[0,0,1]
	v_mul_f16_e32 v42, 0x2fb7, v61
	v_pk_fma_f16 v2, 0x388bb5ac, v59, v71 op_sel_hi:[1,0,1] neg_lo:[0,0,1] neg_hi:[0,0,1]
	v_mul_f16_e32 v65, 0xbbf1, v75
	v_add_f16_e32 v63, v23, v19
	v_pk_add_f16 v1, v13, v1 op_sel:[1,0]
	v_pk_mul_f16 v66, 0xbb7b394e, v78 op_sel_hi:[1,0]
	v_pk_mul_f16 v39, 0xb9fdb5ac, v61 op_sel_hi:[1,0]
	;; [unrolled: 1-line block ×3, first 2 shown]
	v_mul_f16_e32 v41, 0xbbc4, v59
	v_pk_add_f16 v1, v1, v2
	v_pk_fma_f16 v2, 0x2fb7bbc4, v62, v67 op_sel_hi:[1,0,1] neg_lo:[0,0,1] neg_hi:[0,0,1]
	v_mul_f16_e32 v64, 0xb3a8, v76
	v_sub_f16_e32 v79, v38, v44
	v_sub_f16_e32 v36, v36, v43
	v_pack_b32_f16 v43, v39, v42
	v_pk_add_f16 v1, v1, v2
	v_pk_fma_f16 v2, 0xb5acb9fd, v63, v66 op_sel_hi:[1,0,1] neg_lo:[0,0,1] neg_hi:[0,0,1]
	v_pack_b32_f16 v44, v40, v65
	v_pk_mul_f16 v46, 0x2fb7b9fd, v59 op_sel_hi:[1,0]
	v_pk_mul_f16 v47, 0x3bf1394e, v76 op_sel_hi:[1,0]
	v_mul_f16_e32 v58, 0xb5ac, v62
	v_mul_f16_e32 v60, 0x3b7b, v77
	v_pk_add_f16 v1, v1, v2
	v_pk_add_f16 v2, v43, v44 neg_lo:[0,1] neg_hi:[0,1]
	v_pack_b32_f16 v43, v46, v41
	v_pack_b32_f16 v44, v47, v64
	v_pk_mul_f16 v48, 0x388b3b15, v62 op_sel_hi:[1,0]
	v_pk_mul_f16 v50, 0xba953770, v77 op_sel_hi:[1,0]
	v_mul_f16_e32 v45, 0x3b15, v63
	v_mul_f16_e32 v55, 0x3770, v78
	v_add_f16_e32 v72, v21, v20
	v_pk_add_f16 v2, v13, v2 op_sel:[1,0]
	v_pk_add_f16 v43, v43, v44 neg_lo:[0,1] neg_hi:[0,1]
	v_pack_b32_f16 v44, v48, v58
	v_pack_b32_f16 v53, v50, v60
	v_pk_mul_f16 v51, 0xbbc42fb7, v63 op_sel_hi:[1,0]
	v_pk_mul_f16 v52, 0x33a8bbf1, v78 op_sel_hi:[1,0]
	v_mul_f16_e32 v56, 0x388b, v72
	v_mul_f16_e32 v57, 0xba95, v79
	v_add_f16_e32 v38, v22, v13
	v_pk_add_f16 v2, v2, v43
	v_pk_add_f16 v43, v44, v53 neg_lo:[0,1] neg_hi:[0,1]
	v_pack_b32_f16 v44, v51, v45
	v_pack_b32_f16 v70, v52, v55
	v_pk_mul_f16 v53, 0x3b15bbc4, v72 op_sel_hi:[1,0]
	v_pk_mul_f16 v54, 0x377033a8, v79 op_sel_hi:[1,0]
	;; [unrolled: 1-line block ×3, first 2 shown]
	v_mul_f16_e32 v68, 0xb9fd, v38
	v_mul_f16_e32 v69, 0xb94e, v36
	v_pk_add_f16 v2, v2, v43
	v_pk_add_f16 v81, v44, v70 neg_lo:[0,1] neg_hi:[0,1]
	v_pack_b32_f16 v82, v53, v56
	v_pack_b32_f16 v83, v54, v57
	v_pk_mul_f16 v43, 0xb5ac388b, v38 op_sel_hi:[1,0]
	v_pk_mul_f16 v44, 0xbb7b3a95, v36 op_sel_hi:[1,0]
	v_pk_fma_f16 v80, 0xb9fd2fb7, v72, v74 op_sel_hi:[1,0,1] neg_lo:[0,0,1] neg_hi:[0,0,1]
	v_pk_mul_f16 v70, 0xb3a83770, v36 op_sel_hi:[1,0]
	v_pk_add_f16 v2, v2, v81
	v_pk_add_f16 v81, v82, v83 neg_lo:[0,1] neg_hi:[0,1]
	v_pack_b32_f16 v82, v43, v68
	v_pack_b32_f16 v83, v44, v69
	v_pk_add_f16 v1, v1, v80
	v_pk_fma_f16 v80, 0xbbc43b15, v38, v70 op_sel_hi:[1,0,1] neg_lo:[0,0,1] neg_hi:[0,0,1]
	v_pk_add_f16 v81, v2, v81
	global_wb scope:SCOPE_SE
	s_wait_dscnt 0x0
	v_pk_add_f16 v82, v82, v83 neg_lo:[0,1] neg_hi:[0,1]
	s_barrier_signal -1
	v_pk_add_f16 v2, v1, v80
	s_barrier_wait -1
	global_inv scope:SCOPE_SE
	v_pk_add_f16 v1, v81, v82
	s_and_saveexec_b32 s4, s1
	s_cbranch_execz .LBB0_18
; %bb.17:
	v_lshrrev_b32_e32 v80, 16, v13
	v_pk_mul_f16 v81, 0x3b15388b, v61 op_sel_hi:[1,0]
	v_pk_mul_f16 v83, 0x388bb5ac, v59 op_sel_hi:[1,0]
	v_bfi_b32 v22, 0xffff, v22, v73
	v_pk_mul_f16 v84, 0x2fb7bbc4, v62 op_sel_hi:[1,0]
	v_add_f16_e32 v32, v80, v32
	v_perm_b32 v65, v65, v73, 0x5040100
	v_perm_b32 v42, v42, v81, 0x5040100
	;; [unrolled: 1-line block ×3, first 2 shown]
	v_pk_mul_f16 v85, 0xb5acb9fd, v63 op_sel_hi:[1,0]
	v_add_f16_e32 v31, v32, v31
	v_perm_b32 v41, v41, v83, 0x5040100
	v_pk_add_f16 v42, v42, v65
	v_pk_mul_f16 v86, 0xb9fd2fb7, v72 op_sel_hi:[1,0]
	v_pk_mul_f16 v87, 0xbbc43b15, v38 op_sel_hi:[1,0]
	v_add_f16_e32 v25, v31, v25
	v_mul_f16_e32 v88, 0xbbc4, v61
	v_mul_f16_e32 v32, 0xb3a8, v75
	v_mul_f16_e32 v75, 0x3b15, v59
	v_mul_f16_e32 v76, 0x3770, v76
	v_add_f16_e32 v23, v25, v23
	v_mul_f16_e32 v89, 0xb9fd, v62
	v_fmamk_f16 v61, v61, 0xbbc4, v32
	v_mul_f16_e32 v31, 0xb94e, v77
	v_fmamk_f16 v59, v59, 0x3b15, v76
	v_add_f16_e32 v21, v23, v21
	v_perm_b32 v23, v64, v71, 0x5040100
	v_pk_add_f16 v71, v83, v71
	v_add_f16_e32 v61, v80, v61
	v_mul_f16_e32 v77, 0x388b, v63
	v_bfi_b32 v21, 0xffff, v21, v81
	v_mul_f16_e32 v78, 0x3a95, v78
	v_bfi_b32 v20, 0xffff, v20, v71
	v_fmamk_f16 v62, v62, 0xb9fd, v31
	v_bfi_b32 v31, 0xffff, v31, v50
	v_pk_add_f16 v21, v21, v22
	v_pk_add_f16 v22, v84, v67
	v_add_f16_e32 v59, v61, v59
	v_mul_f16_e32 v90, 0xb5ac, v72
	v_mul_f16_e32 v25, 0xbb7b, v79
	v_pk_add_f16 v13, v21, v13
	v_pk_add_f16 v21, v85, v66
	v_bfi_b32 v19, 0xffff, v19, v22
	v_pk_add_f16 v22, v41, v23
	v_perm_b32 v23, v58, v84, 0x5040100
	v_pk_add_f16 v13, v20, v13
	v_pk_add_f16 v20, v82, v42
	v_perm_b32 v41, v60, v67, 0x5040100
	v_pk_add_f16 v42, v86, v74
	v_bfi_b32 v18, 0xffff, v18, v21
	v_pk_add_f16 v13, v19, v13
	v_pk_add_f16 v19, v20, v22
	;; [unrolled: 1-line block ×3, first 2 shown]
	v_perm_b32 v21, v45, v85, 0x5040100
	v_perm_b32 v22, v55, v66, 0x5040100
	v_pk_add_f16 v13, v18, v13
	v_bfi_b32 v17, 0xffff, v17, v42
	v_pk_add_f16 v18, v87, v70
	v_pk_add_f16 v19, v19, v20
	v_pk_add_f16 v20, v21, v22
	v_perm_b32 v21, v56, v86, 0x5040100
	v_perm_b32 v22, v57, v74, 0x5040100
	v_pk_add_f16 v13, v17, v13
	v_bfi_b32 v0, 0xffff, v0, v18
	v_pk_add_f16 v18, v19, v20
	v_pk_add_f16 v20, v39, v40
	;; [unrolled: 1-line block ×3, first 2 shown]
	v_bfi_b32 v21, 0xffff, v88, v39
	v_bfi_b32 v22, 0xffff, v32, v40
	v_pk_add_f16 v17, v0, v13
	v_pk_add_f16 v13, v82, v20
	;; [unrolled: 1-line block ×4, first 2 shown]
	v_pk_add_f16 v19, v21, v22 neg_lo:[0,1] neg_hi:[0,1]
	v_bfi_b32 v20, 0xffff, v75, v46
	v_bfi_b32 v21, 0xffff, v76, v47
	v_perm_b32 v22, v68, v87, 0x5040100
	v_pk_add_f16 v13, v13, v18
	v_pk_add_f16 v18, v48, v50
	;; [unrolled: 1-line block ×3, first 2 shown]
	v_pk_add_f16 v20, v20, v21 neg_lo:[0,1] neg_hi:[0,1]
	v_bfi_b32 v21, 0xffff, v89, v48
	v_perm_b32 v32, v69, v70, 0x5040100
	v_pk_add_f16 v13, v13, v18
	v_pk_add_f16 v18, v51, v52
	;; [unrolled: 1-line block ×3, first 2 shown]
	v_pk_add_f16 v20, v21, v31 neg_lo:[0,1] neg_hi:[0,1]
	v_bfi_b32 v21, 0xffff, v77, v51
	v_bfi_b32 v31, 0xffff, v78, v52
	v_fmamk_f16 v63, v63, 0x388b, v78
	v_add_f16_e32 v59, v59, v62
	v_fmamk_f16 v64, v72, 0xb5ac, v25
	v_pk_add_f16 v22, v22, v32
	v_pk_add_f16 v13, v13, v18
	;; [unrolled: 1-line block ×4, first 2 shown]
	v_pk_add_f16 v20, v21, v31 neg_lo:[0,1] neg_hi:[0,1]
	v_bfi_b32 v21, 0xffff, v90, v53
	v_bfi_b32 v25, 0xffff, v25, v54
	v_mul_f16_e32 v31, 0x2fb7, v38
	v_mul_f16_e32 v32, 0x3bf1, v36
	v_add_f16_e32 v59, v59, v63
	v_pk_add_f16 v13, v13, v18
	v_pk_add_f16 v18, v19, v20
	v_pk_add_f16 v19, v21, v25 neg_lo:[0,1] neg_hi:[0,1]
	v_bfi_b32 v20, 0xffff, v31, v43
	v_bfi_b32 v21, 0xffff, v32, v44
	v_pk_add_f16 v25, v43, v44
	v_fmamk_f16 v31, v38, 0x2fb7, v32
	v_mul_u32_u24_e32 v32, 24, v5
	v_add_f16_e32 v23, v59, v64
	v_pk_add_f16 v36, v18, v19
	v_pk_add_f16 v20, v20, v21 neg_lo:[0,1] neg_hi:[0,1]
	v_pk_add_f16 v18, v0, v22
	v_pk_add_f16 v19, v13, v25
	v_add3_u32 v13, v49, v32, v4
	v_add_f16_e32 v21, v23, v31
	v_pk_add_f16 v0, v36, v20
	ds_store_b96 v13, v[17:19]
	ds_store_b16 v13, v21 offset:12
	ds_store_b96 v13, v[0:2] offset:14
.LBB0_18:
	s_wait_alu 0xfffe
	s_or_b32 exec_lo, exec_lo, s4
	global_wb scope:SCOPE_SE
	s_wait_dscnt 0x0
	s_barrier_signal -1
	s_barrier_wait -1
	global_inv scope:SCOPE_SE
	ds_load_u16 v13, v16
	ds_load_u16 v17, v15 offset:988
	ds_load_u16 v23, v15 offset:858
	;; [unrolled: 1-line block ×9, first 2 shown]
	v_lshrrev_b32_e32 v0, 16, v1
                                        ; implicit-def: $vgpr21
                                        ; implicit-def: $vgpr22
	s_and_saveexec_b32 s1, s0
	s_cbranch_execz .LBB0_20
; %bb.19:
	ds_load_u16 v2, v15 offset:546
	ds_load_u16 v0, v15 offset:260
	;; [unrolled: 1-line block ×3, first 2 shown]
	s_wait_dscnt 0x2
	ds_load_u16_d16_hi v2, v15 offset:832
	ds_load_u16 v21, v15 offset:1404
.LBB0_20:
	s_wait_alu 0xfffe
	s_or_b32 exec_lo, exec_lo, s1
	v_and_b32_e32 v1, 0xff, v5
	v_add_nc_u16 v32, v5, 0x41
	v_add_nc_u16 v38, v5, 0x82
	v_lshrrev_b32_e32 v58, 16, v3
	s_wait_dscnt 0x1
	v_lshrrev_b32_e32 v59, 16, v2
	v_mul_lo_u16 v1, 0x4f, v1
	v_and_b32_e32 v40, 0xff, v32
	v_and_b32_e32 v42, 0xff, v38
	s_delay_alu instid0(VALU_DEP_3) | instskip(NEXT) | instid1(VALU_DEP_3)
	v_lshrrev_b16 v1, 10, v1
	v_mul_lo_u16 v40, 0x4f, v40
	s_delay_alu instid0(VALU_DEP_3) | instskip(NEXT) | instid1(VALU_DEP_3)
	v_mul_lo_u16 v42, 0x4f, v42
	v_mul_lo_u16 v41, v1, 13
	s_delay_alu instid0(VALU_DEP_3) | instskip(NEXT) | instid1(VALU_DEP_3)
	v_lshrrev_b16 v40, 10, v40
	v_lshrrev_b16 v42, 10, v42
	v_and_b32_e32 v1, 0xffff, v1
	s_delay_alu instid0(VALU_DEP_4) | instskip(NEXT) | instid1(VALU_DEP_4)
	v_sub_nc_u16 v41, v5, v41
	v_mul_lo_u16 v43, v40, 13
	s_delay_alu instid0(VALU_DEP_4) | instskip(NEXT) | instid1(VALU_DEP_4)
	v_mul_lo_u16 v42, v42, 13
	v_mad_u32_u24 v1, 0x82, v1, 0
	s_delay_alu instid0(VALU_DEP_4) | instskip(NEXT) | instid1(VALU_DEP_4)
	v_and_b32_e32 v41, 0xff, v41
	v_sub_nc_u16 v32, v32, v43
	s_delay_alu instid0(VALU_DEP_4) | instskip(NEXT) | instid1(VALU_DEP_3)
	v_sub_nc_u16 v38, v38, v42
	v_lshlrev_b32_e32 v44, 4, v41
	s_delay_alu instid0(VALU_DEP_3) | instskip(NEXT) | instid1(VALU_DEP_3)
	v_and_b32_e32 v42, 0xff, v32
	v_and_b32_e32 v38, 0xff, v38
	global_load_b128 v[46:49], v44, s[8:9]
	v_lshlrev_b32_e32 v32, 4, v42
	v_lshlrev_b32_e32 v43, 4, v38
	s_clause 0x1
	global_load_b128 v[50:53], v32, s[8:9]
	global_load_b128 v[54:57], v43, s[8:9]
	v_and_b32_e32 v32, 0xffff, v40
	v_lshlrev_b32_e32 v40, 1, v41
	global_wb scope:SCOPE_SE
	s_wait_loadcnt_dscnt 0x0
	s_barrier_signal -1
	s_barrier_wait -1
	v_mad_u32_u24 v41, 0x82, v32, 0
	v_add3_u32 v32, v1, v40, v4
	v_lshlrev_b32_e32 v40, 1, v42
	v_lshlrev_b32_e32 v1, 1, v38
	global_inv scope:SCOPE_SE
	v_add3_u32 v38, v41, v40, v4
	v_lshrrev_b32_e32 v42, 16, v46
	v_lshrrev_b32_e32 v41, 16, v47
	;; [unrolled: 1-line block ×5, first 2 shown]
	v_mul_f16_e32 v45, v39, v42
	v_mul_f16_e32 v40, v37, v42
	;; [unrolled: 1-line block ×8, first 2 shown]
	v_lshrrev_b32_e32 v44, 16, v50
	v_lshrrev_b32_e32 v64, 16, v52
	v_lshrrev_b32_e32 v65, 16, v53
	v_lshrrev_b32_e32 v66, 16, v54
	v_lshrrev_b32_e32 v68, 16, v56
	v_lshrrev_b32_e32 v69, 16, v57
	v_fma_f16 v45, v37, v46, -v45
	v_fmac_f16_e32 v40, v39, v46
	v_fma_f16 v46, v34, v47, -v60
	v_fmac_f16_e32 v41, v25, v47
	;; [unrolled: 2-line block ×4, first 2 shown]
	v_mul_f16_e32 v49, v20, v44
	v_mul_f16_e32 v23, v28, v44
	v_mul_f16_e32 v60, v18, v63
	v_mul_f16_e32 v25, v26, v63
	v_mul_f16_e32 v61, v17, v64
	v_mul_f16_e32 v39, v24, v64
	v_mul_f16_e32 v62, v19, v65
	v_mul_f16_e32 v37, v27, v65
	v_mul_f16_e32 v63, v2, v66
	v_mul_f16_e32 v65, v22, v68
	v_mul_f16_e32 v36, v29, v69
	v_lshrrev_b32_e32 v67, 16, v55
	v_mul_f16_e32 v33, v3, v66
	v_mul_f16_e32 v34, v30, v68
	;; [unrolled: 1-line block ×3, first 2 shown]
	v_fma_f16 v44, v28, v50, -v49
	v_fmac_f16_e32 v23, v20, v50
	v_fma_f16 v20, v26, v51, -v60
	v_fmac_f16_e32 v25, v18, v51
	v_fma_f16 v18, v24, v52, -v61
	v_fmac_f16_e32 v39, v17, v52
	v_fma_f16 v17, v27, v53, -v62
	v_fma_f16 v28, v3, v54, -v63
	;; [unrolled: 1-line block ×3, first 2 shown]
	v_fmac_f16_e32 v36, v21, v57
	v_add_f16_e32 v21, v46, v47
	v_sub_f16_e32 v26, v45, v46
	v_sub_f16_e32 v27, v48, v47
	v_add_f16_e32 v30, v45, v48
	v_sub_f16_e32 v49, v46, v45
	v_sub_f16_e32 v50, v47, v48
	v_mul_f16_e32 v64, v59, v67
	v_fmac_f16_e32 v37, v19, v53
	v_fmac_f16_e32 v33, v2, v54
	;; [unrolled: 1-line block ×3, first 2 shown]
	v_add_f16_e32 v19, v7, v45
	v_sub_f16_e32 v22, v40, v43
	v_sub_f16_e32 v24, v41, v42
	v_fma_f16 v21, -0.5, v21, v7
	v_add_f16_e32 v26, v26, v27
	v_fmac_f16_e32 v7, -0.5, v30
	v_add_f16_e32 v27, v49, v50
	v_add_f16_e32 v30, v12, v44
	;; [unrolled: 1-line block ×4, first 2 shown]
	v_mul_f16_e32 v35, v58, v67
	v_fma_f16 v2, v58, v55, -v64
	v_fma_f16 v29, v29, v57, -v66
	v_add_f16_e32 v19, v19, v46
	v_sub_f16_e32 v50, v23, v37
	v_sub_f16_e32 v51, v25, v39
	v_fmamk_f16 v57, v22, 0x3b9c, v21
	v_fmac_f16_e32 v21, 0xbb9c, v22
	v_fmamk_f16 v58, v24, 0xbb9c, v7
	v_fmac_f16_e32 v7, 0x3b9c, v24
	v_add_f16_e32 v30, v30, v20
	v_fma_f16 v49, -0.5, v49, v12
	v_fmac_f16_e32 v12, -0.5, v54
	v_fmac_f16_e32 v35, v59, v55
	v_sub_f16_e32 v52, v44, v20
	v_sub_f16_e32 v53, v17, v18
	;; [unrolled: 1-line block ×4, first 2 shown]
	v_add_f16_e32 v19, v19, v47
	v_fmac_f16_e32 v57, 0x38b4, v24
	v_fmac_f16_e32 v21, 0xb8b4, v24
	v_fmac_f16_e32 v58, 0x38b4, v22
	v_fmac_f16_e32 v7, 0xb8b4, v22
	v_add_f16_e32 v22, v30, v18
	v_fmamk_f16 v24, v50, 0x3b9c, v49
	v_fmac_f16_e32 v49, 0xbb9c, v50
	v_fmamk_f16 v30, v51, 0xbb9c, v12
	v_fmac_f16_e32 v12, 0x3b9c, v51
	v_add_f16_e32 v52, v52, v53
	v_add_f16_e32 v53, v55, v56
	;; [unrolled: 1-line block ×3, first 2 shown]
	v_fmac_f16_e32 v24, 0x38b4, v51
	v_fmac_f16_e32 v49, 0xb8b4, v51
	;; [unrolled: 1-line block ×8, first 2 shown]
	v_add_f16_e32 v22, v22, v17
	v_fmac_f16_e32 v24, 0x34f2, v52
	v_fmac_f16_e32 v49, 0x34f2, v52
	;; [unrolled: 1-line block ×4, first 2 shown]
	ds_store_b16 v32, v19
	ds_store_b16 v32, v57 offset:26
	ds_store_b16 v32, v58 offset:52
	;; [unrolled: 1-line block ×4, first 2 shown]
	ds_store_b16 v38, v22
	ds_store_b16 v38, v24 offset:26
	ds_store_b16 v38, v30 offset:52
	;; [unrolled: 1-line block ×4, first 2 shown]
	s_and_saveexec_b32 s1, s0
	s_cbranch_execz .LBB0_22
; %bb.21:
	v_add_f16_e32 v7, v28, v29
	v_add_f16_e32 v22, v2, v3
	;; [unrolled: 1-line block ×3, first 2 shown]
	v_sub_f16_e32 v24, v33, v36
	v_sub_f16_e32 v12, v2, v28
	v_fma_f16 v7, -0.5, v7, v6
	v_fma_f16 v6, -0.5, v22, v6
	v_sub_f16_e32 v19, v3, v29
	v_sub_f16_e32 v21, v35, v34
	v_add_f16_e32 v26, v26, v2
	v_sub_f16_e32 v22, v28, v2
	v_sub_f16_e32 v27, v29, v3
	v_fmamk_f16 v30, v24, 0xbb9c, v6
	v_fmac_f16_e32 v6, 0x3b9c, v24
	v_add_f16_e32 v12, v12, v19
	v_fmamk_f16 v19, v21, 0x3b9c, v7
	v_fmac_f16_e32 v7, 0xbb9c, v21
	v_add_f16_e32 v26, v26, v3
	v_add_f16_e32 v22, v22, v27
	v_fmac_f16_e32 v6, 0x38b4, v21
	v_fmac_f16_e32 v19, 0xb8b4, v24
	;; [unrolled: 1-line block ×4, first 2 shown]
	v_add_f16_e32 v21, v26, v29
	v_add3_u32 v24, 0, v1, v4
	v_fmac_f16_e32 v6, 0x34f2, v22
	v_fmac_f16_e32 v7, 0x34f2, v12
	;; [unrolled: 1-line block ×4, first 2 shown]
	ds_store_b16 v24, v21 offset:1300
	ds_store_b16 v24, v6 offset:1326
	;; [unrolled: 1-line block ×5, first 2 shown]
.LBB0_22:
	s_wait_alu 0xfffe
	s_or_b32 exec_lo, exec_lo, s1
	v_add_f16_e32 v6, v41, v42
	v_sub_f16_e32 v12, v45, v48
	v_add_f16_e32 v24, v40, v43
	v_add_f16_e32 v7, v13, v40
	v_sub_f16_e32 v19, v46, v47
	v_fma_f16 v6, -0.5, v6, v13
	v_sub_f16_e32 v21, v40, v41
	v_sub_f16_e32 v22, v43, v42
	v_fmac_f16_e32 v13, -0.5, v24
	v_sub_f16_e32 v24, v42, v43
	v_fmamk_f16 v30, v12, 0xbb9c, v6
	v_fmac_f16_e32 v6, 0x3b9c, v12
	v_add_f16_e32 v21, v21, v22
	v_fmamk_f16 v45, v19, 0x3b9c, v13
	v_fmac_f16_e32 v13, 0xbb9c, v19
	v_fmac_f16_e32 v30, 0xb8b4, v19
	;; [unrolled: 1-line block ×3, first 2 shown]
	v_add_f16_e32 v19, v31, v23
	v_add_f16_e32 v22, v25, v39
	v_fmac_f16_e32 v45, 0xb8b4, v12
	v_fmac_f16_e32 v30, 0x34f2, v21
	;; [unrolled: 1-line block ×3, first 2 shown]
	v_sub_f16_e32 v21, v41, v40
	v_fmac_f16_e32 v13, 0x38b4, v12
	v_add_f16_e32 v12, v19, v25
	v_add_f16_e32 v19, v23, v37
	;; [unrolled: 1-line block ×3, first 2 shown]
	v_fma_f16 v40, -0.5, v22, v31
	v_sub_f16_e32 v17, v44, v17
	v_add_f16_e32 v21, v21, v24
	v_sub_f16_e32 v18, v20, v18
	v_fmac_f16_e32 v31, -0.5, v19
	v_add_f16_e32 v7, v7, v42
	v_fmamk_f16 v41, v17, 0xbb9c, v40
	v_fmac_f16_e32 v45, 0x34f2, v21
	v_fmac_f16_e32 v13, 0x34f2, v21
	v_sub_f16_e32 v19, v23, v25
	v_sub_f16_e32 v20, v37, v39
	v_fmac_f16_e32 v40, 0x3b9c, v17
	v_fmamk_f16 v42, v18, 0x3b9c, v31
	v_sub_f16_e32 v21, v25, v23
	v_sub_f16_e32 v22, v39, v37
	v_fmac_f16_e32 v31, 0xbb9c, v18
	v_add_f16_e32 v7, v7, v43
	v_add_f16_e32 v12, v12, v39
	v_fmac_f16_e32 v41, 0xb8b4, v18
	v_add_f16_e32 v39, v19, v20
	v_fmac_f16_e32 v40, 0x38b4, v18
	v_fmac_f16_e32 v42, 0xb8b4, v17
	v_add_f16_e32 v43, v21, v22
	v_fmac_f16_e32 v31, 0x38b4, v17
	global_wb scope:SCOPE_SE
	s_wait_dscnt 0x0
	s_barrier_signal -1
	s_barrier_wait -1
	global_inv scope:SCOPE_SE
	ds_load_u16 v17, v16
	ds_load_u16 v25, v15 offset:130
	ds_load_u16 v23, v15 offset:260
	;; [unrolled: 1-line block ×10, first 2 shown]
	v_add_f16_e32 v12, v12, v37
	v_fmac_f16_e32 v41, 0x34f2, v39
	v_fmac_f16_e32 v40, 0x34f2, v39
	v_fmac_f16_e32 v42, 0x34f2, v43
	v_fmac_f16_e32 v31, 0x34f2, v43
	global_wb scope:SCOPE_SE
	s_wait_dscnt 0x0
	s_barrier_signal -1
	s_barrier_wait -1
	global_inv scope:SCOPE_SE
	ds_store_b16 v32, v7
	ds_store_b16 v32, v30 offset:26
	ds_store_b16 v32, v45 offset:52
	;; [unrolled: 1-line block ×4, first 2 shown]
	ds_store_b16 v38, v12
	ds_store_b16 v38, v41 offset:26
	ds_store_b16 v38, v42 offset:52
	;; [unrolled: 1-line block ×4, first 2 shown]
	s_and_saveexec_b32 s1, s0
	s_cbranch_execz .LBB0_24
; %bb.23:
	v_add_f16_e32 v7, v35, v34
	v_add_f16_e32 v13, v33, v36
	;; [unrolled: 1-line block ×3, first 2 shown]
	v_sub_f16_e32 v12, v28, v29
	v_sub_f16_e32 v2, v2, v3
	v_fma_f16 v7, -0.5, v7, v0
	v_fmac_f16_e32 v0, -0.5, v13
	v_add_f16_e32 v6, v6, v35
	v_sub_f16_e32 v3, v33, v35
	v_sub_f16_e32 v28, v36, v34
	v_fmamk_f16 v13, v12, 0xbb9c, v7
	v_sub_f16_e32 v29, v35, v33
	v_fmamk_f16 v30, v2, 0x3b9c, v0
	v_sub_f16_e32 v31, v34, v36
	v_fmac_f16_e32 v0, 0xbb9c, v2
	v_fmac_f16_e32 v7, 0x3b9c, v12
	v_add_f16_e32 v6, v6, v34
	v_fmac_f16_e32 v13, 0xb8b4, v2
	v_add_f16_e32 v3, v3, v28
	;; [unrolled: 2-line block ×3, first 2 shown]
	v_fmac_f16_e32 v0, 0x38b4, v12
	v_fmac_f16_e32 v7, 0x38b4, v2
	v_add_f16_e32 v6, v6, v36
	v_add3_u32 v1, 0, v1, v4
	v_fmac_f16_e32 v13, 0x34f2, v3
	v_fmac_f16_e32 v30, 0x34f2, v28
	;; [unrolled: 1-line block ×4, first 2 shown]
	ds_store_b16 v1, v6 offset:1300
	ds_store_b16 v1, v13 offset:1326
	;; [unrolled: 1-line block ×5, first 2 shown]
.LBB0_24:
	s_wait_alu 0xfffe
	s_or_b32 exec_lo, exec_lo, s1
	global_wb scope:SCOPE_SE
	s_wait_dscnt 0x0
	s_barrier_signal -1
	s_barrier_wait -1
	global_inv scope:SCOPE_SE
	s_and_saveexec_b32 s0, vcc_lo
	s_cbranch_execz .LBB0_26
; %bb.25:
	v_mul_u32_u24_e32 v0, 10, v5
	v_mad_co_u64_u32 v[36:37], null, s16, v14, 0
	v_mul_lo_u32 v28, s3, v10
	v_mul_lo_u32 v29, s2, v11
	s_delay_alu instid0(VALU_DEP_4)
	v_lshlrev_b32_e32 v4, 2, v0
	v_mad_co_u64_u32 v[10:11], null, s2, v10, 0
	v_lshlrev_b64_e32 v[38:39], 2, v[8:9]
	s_clause 0x2
	global_load_b64 v[12:13], v4, s[8:9] offset:240
	global_load_b128 v[0:3], v4, s[8:9] offset:208
	global_load_b128 v[4:7], v4, s[8:9] offset:224
	ds_load_u16 v33, v15 offset:390
	ds_load_u16 v30, v15 offset:520
	;; [unrolled: 1-line block ×7, first 2 shown]
	ds_load_u16 v16, v16
	ds_load_u16 v47, v15 offset:1300
	ds_load_u16 v48, v15 offset:1170
	;; [unrolled: 1-line block ×3, first 2 shown]
	v_mov_b32_e32 v15, v37
	v_add3_u32 v11, v11, v29, v28
	s_delay_alu instid0(VALU_DEP_1) | instskip(SKIP_1) | instid1(VALU_DEP_3)
	v_lshlrev_b64_e32 v[10:11], 2, v[10:11]
	s_wait_dscnt 0x3
	v_mad_co_u64_u32 v[28:29], null, s17, v14, v[15:16]
	s_delay_alu instid0(VALU_DEP_1) | instskip(NEXT) | instid1(VALU_DEP_1)
	v_dual_mov_b32 v37, v28 :: v_dual_add_nc_u32 v44, 0x41, v14
	v_mad_co_u64_u32 v[8:9], null, s16, v44, 0
	s_delay_alu instid0(VALU_DEP_1) | instskip(SKIP_4) | instid1(VALU_DEP_3)
	v_mad_co_u64_u32 v[44:45], null, s17, v44, v[9:10]
	v_add_co_u32 v9, vcc_lo, s6, v10
	s_wait_alu 0xfffd
	v_add_co_ci_u32_e32 v15, vcc_lo, s7, v11, vcc_lo
	v_lshlrev_b64_e32 v[10:11], 2, v[36:37]
	v_add_co_u32 v28, vcc_lo, v9, v38
	s_wait_alu 0xfffd
	s_delay_alu instid0(VALU_DEP_3) | instskip(SKIP_1) | instid1(VALU_DEP_3)
	v_add_co_ci_u32_e32 v15, vcc_lo, v15, v39, vcc_lo
	v_dual_mov_b32 v9, v44 :: v_dual_add_nc_u32 v50, 0x82, v14
	v_add_co_u32 v10, vcc_lo, v28, v10
	s_wait_alu 0xfffd
	s_delay_alu instid0(VALU_DEP_3) | instskip(NEXT) | instid1(VALU_DEP_3)
	v_add_co_ci_u32_e32 v11, vcc_lo, v15, v11, vcc_lo
	v_mad_co_u64_u32 v[40:41], null, s16, v50, 0
	v_add_nc_u32_e32 v51, 0xc3, v14
	s_wait_loadcnt 0x2
	v_lshrrev_b32_e32 v36, 16, v13
	s_wait_loadcnt 0x1
	v_lshrrev_b32_e32 v37, 16, v0
	v_lshrrev_b32_e32 v29, 16, v12
	v_lshrrev_b32_e32 v38, 16, v1
	v_lshrrev_b32_e32 v39, 16, v2
	s_wait_loadcnt 0x0
	v_lshrrev_b32_e32 v52, 16, v5
	v_mul_f16_e32 v55, v27, v36
	v_mul_f16_e32 v56, v25, v37
	;; [unrolled: 1-line block ×3, first 2 shown]
	s_wait_dscnt 0x2
	v_mul_f16_e32 v36, v47, v36
	v_lshrrev_b32_e32 v53, 16, v6
	v_mul_f16_e32 v57, v26, v29
	v_mul_f16_e32 v58, v23, v38
	;; [unrolled: 1-line block ×3, first 2 shown]
	s_wait_dscnt 0x1
	v_mul_f16_e32 v29, v48, v29
	v_mul_f16_e32 v60, v22, v39
	;; [unrolled: 1-line block ×4, first 2 shown]
	v_fmac_f16_e32 v55, v47, v13
	v_fmac_f16_e32 v56, v46, v0
	v_fma_f16 v0, v25, v0, -v37
	v_fma_f16 v13, v27, v13, -v36
	v_lshrrev_b32_e32 v44, 16, v3
	v_mul_f16_e32 v39, v33, v39
	v_mul_f16_e32 v61, v21, v53
	;; [unrolled: 1-line block ×3, first 2 shown]
	v_fmac_f16_e32 v57, v48, v12
	v_fmac_f16_e32 v58, v35, v1
	v_fma_f16 v1, v23, v1, -v38
	v_fma_f16 v12, v26, v12, -v29
	v_fmac_f16_e32 v60, v33, v2
	v_fmac_f16_e32 v63, v31, v5
	v_fma_f16 v5, v19, v5, -v52
	v_sub_f16_e32 v19, v0, v13
	v_add_f16_e32 v29, v13, v0
	v_add_f16_e32 v0, v17, v0
	;; [unrolled: 1-line block ×3, first 2 shown]
	v_lshrrev_b32_e32 v45, 16, v4
	v_lshrrev_b32_e32 v54, 16, v7
	v_mul_f16_e32 v62, v20, v44
	v_mul_f16_e32 v44, v30, v44
	v_fma_f16 v2, v22, v2, -v39
	v_fmac_f16_e32 v61, v34, v6
	v_fma_f16 v6, v21, v6, -v53
	v_sub_f16_e32 v21, v1, v12
	v_add_f16_e32 v31, v12, v1
	v_add_f16_e32 v0, v0, v1
	;; [unrolled: 1-line block ×3, first 2 shown]
	v_mul_f16_e32 v59, v24, v54
	s_wait_dscnt 0x0
	v_mul_f16_e32 v54, v49, v54
	v_mul_f16_e32 v64, v18, v45
	;; [unrolled: 1-line block ×3, first 2 shown]
	v_fmac_f16_e32 v62, v30, v3
	v_fma_f16 v3, v20, v3, -v44
	v_add_f16_e32 v1, v1, v60
	v_add_f16_e32 v0, v0, v2
	v_fmac_f16_e32 v59, v49, v7
	v_fma_f16 v7, v24, v7, -v54
	v_fmac_f16_e32 v64, v32, v4
	v_fma_f16 v4, v18, v4, -v45
	v_add_f16_e32 v18, v55, v56
	v_add_f16_e32 v20, v57, v58
	v_sub_f16_e32 v30, v56, v55
	v_add_f16_e32 v0, v0, v3
	v_add_f16_e32 v1, v1, v62
	;; [unrolled: 1-line block ×3, first 2 shown]
	v_sub_f16_e32 v23, v2, v7
	v_add_f16_e32 v24, v61, v62
	v_sub_f16_e32 v25, v3, v6
	v_add_f16_e32 v26, v63, v64
	v_sub_f16_e32 v27, v4, v5
	v_sub_f16_e32 v32, v58, v57
	;; [unrolled: 1-line block ×5, first 2 shown]
	v_mul_f16_e32 v44, 0xbbad, v18
	v_mul_f16_e32 v45, 0x3abb, v20
	;; [unrolled: 1-line block ×7, first 2 shown]
	v_add_f16_e32 v0, v0, v4
	v_add_f16_e32 v1, v1, v64
	v_add_f16_e32 v35, v7, v2
	v_add_f16_e32 v37, v6, v3
	v_add_f16_e32 v39, v5, v4
	v_mul_f16_e32 v46, 0xb93d, v22
	v_mul_f16_e32 v47, 0x36a6, v24
	;; [unrolled: 1-line block ×43, first 2 shown]
	v_fmamk_f16 v98, v19, 0x3482, v44
	v_fmamk_f16 v99, v21, 0xb853, v45
	;; [unrolled: 1-line block ×3, first 2 shown]
	v_fmac_f16_e32 v44, 0xb482, v19
	v_fmac_f16_e32 v45, 0x3853, v21
	v_fmamk_f16 v21, v18, 0xb93d, v53
	v_fmamk_f16 v105, v18, 0xb08e, v69
	;; [unrolled: 1-line block ×4, first 2 shown]
	v_fma_f16 v53, v18, 0xb93d, -v53
	v_fma_f16 v69, v18, 0xb08e, -v69
	;; [unrolled: 1-line block ×4, first 2 shown]
	v_add_f16_e32 v0, v5, v0
	v_add_f16_e32 v1, v63, v1
	v_fmamk_f16 v100, v23, 0x3a0c, v46
	v_fmamk_f16 v101, v25, 0xbb47, v47
	;; [unrolled: 1-line block ×3, first 2 shown]
	v_fmac_f16_e32 v46, 0xba0c, v23
	v_fmac_f16_e32 v47, 0x3b47, v25
	;; [unrolled: 1-line block ×3, first 2 shown]
	v_fma_f16 v19, v29, 0xbbad, -v49
	v_fmamk_f16 v23, v20, 0xb08e, v54
	v_fmamk_f16 v25, v22, 0x3abb, v56
	v_fmamk_f16 v27, v24, 0xbbad, v65
	v_fmamk_f16 v49, v26, 0x36a6, v66
	v_fma_f16 v104, v29, 0xb93d, -v67
	v_fmamk_f16 v106, v20, 0xbbad, v70
	v_fmamk_f16 v107, v22, 0x36a6, v71
	v_fmamk_f16 v108, v24, 0x3abb, v72
	v_fmamk_f16 v109, v26, 0xb93d, v73
	;; [unrolled: 5-line block ×3, first 2 shown]
	v_fma_f16 v116, v29, 0x36a6, -v80
	v_fmamk_f16 v81, v20, 0x36a6, v82
	v_fma_f16 v54, v20, 0xb08e, -v54
	v_fma_f16 v70, v20, 0xbbad, -v70
	v_fma_f16 v76, v20, 0xb93d, -v76
	v_fma_f16 v20, v20, 0x36a6, -v82
	v_fmamk_f16 v82, v22, 0xb08e, v83
	v_fma_f16 v56, v22, 0x3abb, -v56
	v_fma_f16 v71, v22, 0x36a6, -v71
	v_fma_f16 v77, v22, 0xbbad, -v77
	;; [unrolled: 5-line block ×4, first 2 shown]
	v_fma_f16 v26, v26, 0xbbad, -v85
	v_fma_f16 v85, v29, 0x3abb, -v30
	v_fmac_f16_e32 v67, 0xb93d, v29
	v_fmac_f16_e32 v74, 0xb08e, v29
	v_fmac_f16_e32 v80, 0x36a6, v29
	v_fmac_f16_e32 v30, 0x3abb, v29
	v_fmamk_f16 v29, v31, 0x3abb, v52
	v_fma_f16 v52, v31, 0x3abb, -v52
	v_fma_f16 v118, v31, 0xb08e, -v68
	v_fmac_f16_e32 v68, 0xb08e, v31
	v_fma_f16 v119, v31, 0xbbad, -v33
	v_fmac_f16_e32 v33, 0xbbad, v31
	v_fma_f16 v120, v31, 0xb93d, -v58
	v_fmac_f16_e32 v58, 0xb93d, v31
	v_fma_f16 v121, v31, 0x36a6, -v32
	v_fmac_f16_e32 v32, 0x36a6, v31
	v_fmamk_f16 v2, v35, 0xb93d, v86
	v_fma_f16 v31, v35, 0xb93d, -v86
	v_fma_f16 v60, v35, 0x3abb, -v87
	v_fmac_f16_e32 v87, 0x3abb, v35
	v_fma_f16 v86, v35, 0x36a6, -v88
	v_fmac_f16_e32 v88, 0x36a6, v35
	v_fma_f16 v122, v35, 0xbbad, -v89
	v_fmac_f16_e32 v89, 0xbbad, v35
	v_fma_f16 v123, v35, 0xb08e, -v34
	v_fmac_f16_e32 v34, 0xb08e, v35
	v_fmamk_f16 v35, v37, 0x36a6, v90
	v_fma_f16 v90, v37, 0x36a6, -v90
	v_fma_f16 v124, v37, 0xbbad, -v91
	v_fmac_f16_e32 v91, 0xbbad, v37
	v_fma_f16 v125, v37, 0x3abb, -v92
	v_fmac_f16_e32 v92, 0x3abb, v37
	v_fma_f16 v126, v37, 0xb08e, -v93
	v_fmac_f16_e32 v93, 0xb08e, v37
	v_fma_f16 v127, v37, 0xb93d, -v36
	v_fmac_f16_e32 v36, 0xb93d, v37
	v_fmamk_f16 v37, v39, 0xb08e, v94
	v_fma_f16 v94, v39, 0xb08e, -v94
	v_fma_f16 v128, v39, 0x36a6, -v95
	v_fmac_f16_e32 v95, 0x36a6, v39
	v_fma_f16 v129, v39, 0xb93d, -v96
	v_fmac_f16_e32 v96, 0xb93d, v39
	v_fma_f16 v130, v39, 0x3abb, -v97
	v_fmac_f16_e32 v97, 0x3abb, v39
	v_fma_f16 v131, v39, 0xbbad, -v38
	v_fmac_f16_e32 v38, 0xbbad, v39
	v_add_f16_e32 v3, v16, v98
	v_add_f16_e32 v39, v16, v44
	;; [unrolled: 1-line block ×37, first 2 shown]
	v_mov_b32_e32 v2, v41
	v_mad_co_u64_u32 v[42:43], null, s16, v51, 0
	v_add_f16_e32 v4, v53, v54
	v_add_f16_e32 v53, v67, v68
	;; [unrolled: 1-line block ×4, first 2 shown]
	v_pack_b32_f16 v12, v0, v1
	v_add_f16_e32 v4, v4, v56
	v_add_f16_e32 v5, v53, v87
	;; [unrolled: 1-line block ×4, first 2 shown]
	v_mov_b32_e32 v3, v43
	global_store_b32 v[10:11], v12, off
	v_add_nc_u32_e32 v10, 0x145, v14
	v_add_f16_e32 v29, v39, v45
	v_add_f16_e32 v21, v21, v23
	;; [unrolled: 1-line block ×13, first 2 shown]
	v_lshlrev_b64_e32 v[0:1], 2, v[8:9]
	v_mad_co_u64_u32 v[8:9], null, s16, v10, 0
	v_add_nc_u32_e32 v13, 0x104, v14
	v_add_f16_e32 v20, v21, v25
	v_add_f16_e32 v25, v39, v86
	;; [unrolled: 1-line block ×14, first 2 shown]
	v_mad_co_u64_u32 v[4:5], null, s16, v13, 0
	v_add_f16_e32 v6, v39, v72
	v_add_f16_e32 v20, v20, v27
	;; [unrolled: 1-line block ×9, first 2 shown]
	v_mad_co_u64_u32 v[6:7], null, s17, v50, v[2:3]
	v_mad_co_u64_u32 v[2:3], null, s17, v51, v[3:4]
	v_add_f16_e32 v29, v29, v84
	v_add_f16_e64 v30, v30, v131
	v_mov_b32_e32 v3, v5
	v_add_f16_e32 v18, v18, v47
	v_add_f16_e32 v19, v19, v90
	v_add_co_u32 v0, vcc_lo, v28, v0
	s_wait_alu 0xfffd
	v_add_co_ci_u32_e32 v1, vcc_lo, v15, v1, vcc_lo
	v_pack_b32_f16 v5, v30, v29
	v_dual_mov_b32 v41, v6 :: v_dual_add_nc_u32 v12, 0x208, v14
	v_mov_b32_e32 v43, v2
	v_mad_co_u64_u32 v[2:3], null, s17, v13, v[3:4]
	v_add_f16_e32 v18, v18, v48
	v_add_f16_e32 v19, v19, v94
	global_store_b32 v[0:1], v5, off
	v_lshlrev_b64_e32 v[0:1], 2, v[40:41]
	v_add_f16_e32 v21, v21, v124
	v_add_f16_e32 v25, v25, v115
	v_pack_b32_f16 v13, v19, v18
	v_add_nc_u32_e32 v18, 0x249, v14
	v_lshlrev_b64_e32 v[6:7], 2, v[42:43]
	v_mov_b32_e32 v5, v2
	v_add_co_u32 v0, vcc_lo, v28, v0
	v_add_f16_e64 v27, v27, v130
	s_wait_alu 0xfffd
	v_add_co_ci_u32_e32 v1, vcc_lo, v15, v1, vcc_lo
	v_add_f16_e32 v22, v22, v109
	v_add_f16_e64 v23, v23, v129
	v_lshlrev_b64_e32 v[2:3], 2, v[4:5]
	v_mov_b32_e32 v4, v9
	v_add_co_u32 v5, vcc_lo, v28, v6
	v_add_f16_e32 v20, v20, v49
	v_add_f16_e64 v21, v21, v128
	v_pack_b32_f16 v11, v27, v25
	s_wait_alu 0xfffd
	v_add_co_ci_u32_e32 v6, vcc_lo, v15, v7, vcc_lo
	v_mad_co_u64_u32 v[9:10], null, s17, v10, v[4:5]
	v_pack_b32_f16 v4, v23, v22
	v_add_co_u32 v2, vcc_lo, v28, v2
	s_wait_alu 0xfffd
	v_add_co_ci_u32_e32 v3, vcc_lo, v15, v3, vcc_lo
	v_pack_b32_f16 v7, v21, v20
	s_clause 0x1
	global_store_b32 v[0:1], v11, off
	global_store_b32 v[5:6], v4, off
	v_add_nc_u32_e32 v10, 0x186, v14
	v_add_nc_u32_e32 v11, 0x1c7, v14
	v_lshlrev_b64_e32 v[0:1], 2, v[8:9]
	global_store_b32 v[2:3], v7, off
	v_mad_co_u64_u32 v[6:7], null, s16, v12, 0
	v_mad_co_u64_u32 v[2:3], null, s16, v10, 0
	;; [unrolled: 1-line block ×3, first 2 shown]
	v_add_co_u32 v0, vcc_lo, v28, v0
	s_wait_alu 0xfffd
	v_add_co_ci_u32_e32 v1, vcc_lo, v15, v1, vcc_lo
	v_add_f16_e32 v33, v74, v33
	v_add_f16_e32 v64, v75, v76
	v_mad_co_u64_u32 v[8:9], null, s17, v10, v[3:4]
	v_mad_co_u64_u32 v[9:10], null, s17, v11, v[5:6]
	;; [unrolled: 1-line block ×3, first 2 shown]
	v_mov_b32_e32 v5, v7
	global_store_b32 v[0:1], v13, off
	v_mov_b32_e32 v3, v8
	v_add_f16_e32 v58, v80, v58
	v_add_f16_e32 v33, v33, v88
	;; [unrolled: 1-line block ×4, first 2 shown]
	v_lshlrev_b64_e32 v[0:1], 2, v[2:3]
	v_mov_b32_e32 v2, v11
	v_mad_co_u64_u32 v[7:8], null, s17, v12, v[5:6]
	v_dual_mov_b32 v5, v9 :: v_dual_add_nc_u32 v12, 0x28a, v14
	s_delay_alu instid0(VALU_DEP_3) | instskip(SKIP_1) | instid1(VALU_DEP_3)
	v_mad_co_u64_u32 v[2:3], null, s17, v18, v[2:3]
	v_add_f16_e32 v45, v58, v89
	v_mad_co_u64_u32 v[8:9], null, s16, v12, 0
	s_delay_alu instid0(VALU_DEP_4)
	v_lshlrev_b64_e32 v[4:5], 2, v[4:5]
	v_add_co_u32 v0, vcc_lo, v28, v0
	v_mov_b32_e32 v11, v2
	s_wait_alu 0xfffd
	v_add_co_ci_u32_e32 v1, vcc_lo, v15, v1, vcc_lo
	v_mov_b32_e32 v3, v9
	v_lshlrev_b64_e32 v[6:7], 2, v[6:7]
	v_add_co_u32 v2, vcc_lo, v28, v4
	v_add_f16_e32 v31, v33, v92
	s_delay_alu instid0(VALU_DEP_4)
	v_mad_co_u64_u32 v[12:13], null, s17, v12, v[3:4]
	v_add_f16_e32 v32, v44, v78
	v_add_f16_e32 v33, v45, v93
	s_wait_alu 0xfffd
	v_add_co_ci_u32_e32 v3, vcc_lo, v15, v5, vcc_lo
	v_lshlrev_b64_e32 v[4:5], 2, v[10:11]
	v_add_co_u32 v6, vcc_lo, v28, v6
	v_mov_b32_e32 v9, v12
	v_add_f16_e32 v31, v31, v96
	v_add_f16_e32 v32, v32, v79
	;; [unrolled: 1-line block ×3, first 2 shown]
	s_wait_alu 0xfffd
	v_add_co_ci_u32_e32 v7, vcc_lo, v15, v7, vcc_lo
	v_lshlrev_b64_e32 v[8:9], 2, v[8:9]
	v_add_f16_e32 v17, v17, v38
	v_add_co_u32 v4, vcc_lo, v28, v4
	v_pack_b32_f16 v14, v34, v24
	v_pack_b32_f16 v13, v36, v35
	s_wait_alu 0xfffd
	v_add_co_ci_u32_e32 v5, vcc_lo, v15, v5, vcc_lo
	v_pack_b32_f16 v10, v31, v37
	v_add_co_u32 v8, vcc_lo, v28, v8
	v_pack_b32_f16 v11, v33, v32
	s_wait_alu 0xfffd
	v_add_co_ci_u32_e32 v9, vcc_lo, v15, v9, vcc_lo
	v_pack_b32_f16 v12, v17, v16
	s_clause 0x4
	global_store_b32 v[0:1], v14, off
	global_store_b32 v[2:3], v13, off
	;; [unrolled: 1-line block ×5, first 2 shown]
.LBB0_26:
	s_nop 0
	s_sendmsg sendmsg(MSG_DEALLOC_VGPRS)
	s_endpgm
	.section	.rodata,"a",@progbits
	.p2align	6, 0x0
	.amdhsa_kernel fft_rtc_fwd_len715_factors_13_5_11_wgs_195_tpt_65_halfLds_half_op_CI_CI_sbrr_dirReg
		.amdhsa_group_segment_fixed_size 0
		.amdhsa_private_segment_fixed_size 0
		.amdhsa_kernarg_size 104
		.amdhsa_user_sgpr_count 2
		.amdhsa_user_sgpr_dispatch_ptr 0
		.amdhsa_user_sgpr_queue_ptr 0
		.amdhsa_user_sgpr_kernarg_segment_ptr 1
		.amdhsa_user_sgpr_dispatch_id 0
		.amdhsa_user_sgpr_private_segment_size 0
		.amdhsa_wavefront_size32 1
		.amdhsa_uses_dynamic_stack 0
		.amdhsa_enable_private_segment 0
		.amdhsa_system_sgpr_workgroup_id_x 1
		.amdhsa_system_sgpr_workgroup_id_y 0
		.amdhsa_system_sgpr_workgroup_id_z 0
		.amdhsa_system_sgpr_workgroup_info 0
		.amdhsa_system_vgpr_workitem_id 0
		.amdhsa_next_free_vgpr 132
		.amdhsa_next_free_sgpr 43
		.amdhsa_reserve_vcc 1
		.amdhsa_float_round_mode_32 0
		.amdhsa_float_round_mode_16_64 0
		.amdhsa_float_denorm_mode_32 3
		.amdhsa_float_denorm_mode_16_64 3
		.amdhsa_fp16_overflow 0
		.amdhsa_workgroup_processor_mode 1
		.amdhsa_memory_ordered 1
		.amdhsa_forward_progress 0
		.amdhsa_round_robin_scheduling 0
		.amdhsa_exception_fp_ieee_invalid_op 0
		.amdhsa_exception_fp_denorm_src 0
		.amdhsa_exception_fp_ieee_div_zero 0
		.amdhsa_exception_fp_ieee_overflow 0
		.amdhsa_exception_fp_ieee_underflow 0
		.amdhsa_exception_fp_ieee_inexact 0
		.amdhsa_exception_int_div_zero 0
	.end_amdhsa_kernel
	.text
.Lfunc_end0:
	.size	fft_rtc_fwd_len715_factors_13_5_11_wgs_195_tpt_65_halfLds_half_op_CI_CI_sbrr_dirReg, .Lfunc_end0-fft_rtc_fwd_len715_factors_13_5_11_wgs_195_tpt_65_halfLds_half_op_CI_CI_sbrr_dirReg
                                        ; -- End function
	.section	.AMDGPU.csdata,"",@progbits
; Kernel info:
; codeLenInByte = 11696
; NumSgprs: 45
; NumVgprs: 132
; ScratchSize: 0
; MemoryBound: 0
; FloatMode: 240
; IeeeMode: 1
; LDSByteSize: 0 bytes/workgroup (compile time only)
; SGPRBlocks: 5
; VGPRBlocks: 16
; NumSGPRsForWavesPerEU: 45
; NumVGPRsForWavesPerEU: 132
; Occupancy: 10
; WaveLimiterHint : 1
; COMPUTE_PGM_RSRC2:SCRATCH_EN: 0
; COMPUTE_PGM_RSRC2:USER_SGPR: 2
; COMPUTE_PGM_RSRC2:TRAP_HANDLER: 0
; COMPUTE_PGM_RSRC2:TGID_X_EN: 1
; COMPUTE_PGM_RSRC2:TGID_Y_EN: 0
; COMPUTE_PGM_RSRC2:TGID_Z_EN: 0
; COMPUTE_PGM_RSRC2:TIDIG_COMP_CNT: 0
	.text
	.p2alignl 7, 3214868480
	.fill 96, 4, 3214868480
	.type	__hip_cuid_ff1161466ebb7160,@object ; @__hip_cuid_ff1161466ebb7160
	.section	.bss,"aw",@nobits
	.globl	__hip_cuid_ff1161466ebb7160
__hip_cuid_ff1161466ebb7160:
	.byte	0                               ; 0x0
	.size	__hip_cuid_ff1161466ebb7160, 1

	.ident	"AMD clang version 19.0.0git (https://github.com/RadeonOpenCompute/llvm-project roc-6.4.0 25133 c7fe45cf4b819c5991fe208aaa96edf142730f1d)"
	.section	".note.GNU-stack","",@progbits
	.addrsig
	.addrsig_sym __hip_cuid_ff1161466ebb7160
	.amdgpu_metadata
---
amdhsa.kernels:
  - .args:
      - .actual_access:  read_only
        .address_space:  global
        .offset:         0
        .size:           8
        .value_kind:     global_buffer
      - .offset:         8
        .size:           8
        .value_kind:     by_value
      - .actual_access:  read_only
        .address_space:  global
        .offset:         16
        .size:           8
        .value_kind:     global_buffer
      - .actual_access:  read_only
        .address_space:  global
        .offset:         24
        .size:           8
        .value_kind:     global_buffer
      - .actual_access:  read_only
        .address_space:  global
        .offset:         32
        .size:           8
        .value_kind:     global_buffer
      - .offset:         40
        .size:           8
        .value_kind:     by_value
      - .actual_access:  read_only
        .address_space:  global
        .offset:         48
        .size:           8
        .value_kind:     global_buffer
      - .actual_access:  read_only
        .address_space:  global
        .offset:         56
        .size:           8
        .value_kind:     global_buffer
      - .offset:         64
        .size:           4
        .value_kind:     by_value
      - .actual_access:  read_only
        .address_space:  global
        .offset:         72
        .size:           8
        .value_kind:     global_buffer
      - .actual_access:  read_only
        .address_space:  global
        .offset:         80
        .size:           8
        .value_kind:     global_buffer
      - .actual_access:  read_only
        .address_space:  global
        .offset:         88
        .size:           8
        .value_kind:     global_buffer
      - .actual_access:  write_only
        .address_space:  global
        .offset:         96
        .size:           8
        .value_kind:     global_buffer
    .group_segment_fixed_size: 0
    .kernarg_segment_align: 8
    .kernarg_segment_size: 104
    .language:       OpenCL C
    .language_version:
      - 2
      - 0
    .max_flat_workgroup_size: 195
    .name:           fft_rtc_fwd_len715_factors_13_5_11_wgs_195_tpt_65_halfLds_half_op_CI_CI_sbrr_dirReg
    .private_segment_fixed_size: 0
    .sgpr_count:     45
    .sgpr_spill_count: 0
    .symbol:         fft_rtc_fwd_len715_factors_13_5_11_wgs_195_tpt_65_halfLds_half_op_CI_CI_sbrr_dirReg.kd
    .uniform_work_group_size: 1
    .uses_dynamic_stack: false
    .vgpr_count:     132
    .vgpr_spill_count: 0
    .wavefront_size: 32
    .workgroup_processor_mode: 1
amdhsa.target:   amdgcn-amd-amdhsa--gfx1201
amdhsa.version:
  - 1
  - 2
...

	.end_amdgpu_metadata
